;; amdgpu-corpus repo=ROCm/Tensile kind=harvested arch=n/a opt=n/a

/******************************************/
/* Function Prefix                        */
/******************************************/



/******************************************/
/* Begin Kernel                           */
/******************************************/

// Component.Signature.SignatureDefault
.amdgcn_target "amdgcn-amd-amdhsa--gfx906"
.text
.protected Cijk_Ailk_Bljk_SB_MT48x24x32_SN_APM1_AF0EM1_AF1EM1_AMAS3_ASAE01_ASCE01_ASEM1_BL1_DTLA0_DTLB0_EPS1_FL0_GLVWA2_GLVWB2_GRVW2_GSU4_GSUASB_ISA906_IU1_K1_KLA_LPA0_LPB0_LDL1_LRVW2_MDA2_MMFGLC_NLCA1_NLCB1_ONLL1_PK0_PGR1_PLR1_SU32_SUM0_SUS256_SVW4_SNLL0_TT6_4_USFGRO0_VAW1_VS1_VW2_VWB2_WG8_6_4_WGM1
.globl Cijk_Ailk_Bljk_SB_MT48x24x32_SN_APM1_AF0EM1_AF1EM1_AMAS3_ASAE01_ASCE01_ASEM1_BL1_DTLA0_DTLB0_EPS1_FL0_GLVWA2_GLVWB2_GRVW2_GSU4_GSUASB_ISA906_IU1_K1_KLA_LPA0_LPB0_LDL1_LRVW2_MDA2_MMFGLC_NLCA1_NLCB1_ONLL1_PK0_PGR1_PLR1_SU32_SUM0_SUS256_SVW4_SNLL0_TT6_4_USFGRO0_VAW1_VS1_VW2_VWB2_WG8_6_4_WGM1
.p2align 8
.type Cijk_Ailk_Bljk_SB_MT48x24x32_SN_APM1_AF0EM1_AF1EM1_AMAS3_ASAE01_ASCE01_ASEM1_BL1_DTLA0_DTLB0_EPS1_FL0_GLVWA2_GLVWB2_GRVW2_GSU4_GSUASB_ISA906_IU1_K1_KLA_LPA0_LPB0_LDL1_LRVW2_MDA2_MMFGLC_NLCA1_NLCB1_ONLL1_PK0_PGR1_PLR1_SU32_SUM0_SUS256_SVW4_SNLL0_TT6_4_USFGRO0_VAW1_VS1_VW2_VWB2_WG8_6_4_WGM1,@function
.section .rodata,#alloc
.p2align 6
.amdhsa_kernel Cijk_Ailk_Bljk_SB_MT48x24x32_SN_APM1_AF0EM1_AF1EM1_AMAS3_ASAE01_ASCE01_ASEM1_BL1_DTLA0_DTLB0_EPS1_FL0_GLVWA2_GLVWB2_GRVW2_GSU4_GSUASB_ISA906_IU1_K1_KLA_LPA0_LPB0_LDL1_LRVW2_MDA2_MMFGLC_NLCA1_NLCB1_ONLL1_PK0_PGR1_PLR1_SU32_SUM0_SUS256_SVW4_SNLL0_TT6_4_USFGRO0_VAW1_VS1_VW2_VWB2_WG8_6_4_WGM1
  .amdhsa_user_sgpr_kernarg_segment_ptr 1
  .amdhsa_user_sgpr_count 2
  .amdhsa_next_free_vgpr 70 // vgprs
  .amdhsa_next_free_sgpr 86 // sgprs
  .amdhsa_group_segment_fixed_size 25600 // lds bytes
  .amdhsa_private_segment_fixed_size 0
  .amdhsa_system_sgpr_workgroup_id_x 1
  .amdhsa_system_sgpr_workgroup_id_y 1
  .amdhsa_system_sgpr_workgroup_id_z 1
  .amdhsa_system_vgpr_workitem_id 0
  .amdhsa_float_denorm_mode_32 3
  .amdhsa_float_denorm_mode_16_64 3
.end_amdhsa_kernel
.text

/******************************************/
/* Optimizations and Config:              */
/******************************************/
/* ThreadTile= 6 x 4 */
/* SubGroup= 8 x 6 */
/* VectorWidth=2 */
/* GlobalLoadVectorWidthA=2, GlobalLoadVectorWidthB=2 */
/* DirectToLdsA=False */
/* DirectToLdsB=False */
/* UseSgprForGRO=False */
.amdgpu_metadata
---
amdhsa.version:
  - 1
  - 1
amdhsa.target: amdgcn-amd-amdhsa--gfx906
amdhsa.kernels:
  - .name: Cijk_Ailk_Bljk_SB_MT48x24x32_SN_APM1_AF0EM1_AF1EM1_AMAS3_ASAE01_ASCE01_ASEM1_BL1_DTLA0_DTLB0_EPS1_FL0_GLVWA2_GLVWB2_GRVW2_GSU4_GSUASB_ISA906_IU1_K1_KLA_LPA0_LPB0_LDL1_LRVW2_MDA2_MMFGLC_NLCA1_NLCB1_ONLL1_PK0_PGR1_PLR1_SU32_SUM0_SUS256_SVW4_SNLL0_TT6_4_USFGRO0_VAW1_VS1_VW2_VWB2_WG8_6_4_WGM1
    .symbol: 'Cijk_Ailk_Bljk_SB_MT48x24x32_SN_APM1_AF0EM1_AF1EM1_AMAS3_ASAE01_ASCE01_ASEM1_BL1_DTLA0_DTLB0_EPS1_FL0_GLVWA2_GLVWB2_GRVW2_GSU4_GSUASB_ISA906_IU1_K1_KLA_LPA0_LPB0_LDL1_LRVW2_MDA2_MMFGLC_NLCA1_NLCB1_ONLL1_PK0_PGR1_PLR1_SU32_SUM0_SUS256_SVW4_SNLL0_TT6_4_USFGRO0_VAW1_VS1_VW2_VWB2_WG8_6_4_WGM1.kd'
    .language:                   OpenCL C
    .language_version:
      - 2
      - 0
    .args:
      - .name:            Tensor2dSizeA
        .size:            8
        .offset:          0
        .value_kind:      by_value
        .value_type:      u64
      - .name:            Tensor2dSizeB
        .size:            8
        .offset:          8
        .value_kind:      by_value
        .value_type:      u64
      - .name:            AddressD
        .size:            8
        .offset:          16
        .value_kind:      by_value
        .value_type:      u64
      - .name:            AddressC
        .size:            8
        .offset:          24
        .value_kind:      by_value
        .value_type:      u64
      - .name:            AddressA
        .size:            8
        .offset:          32
        .value_kind:      by_value
        .value_type:      u64
      - .name:            AddressB
        .size:            8
        .offset:          40
        .value_kind:      by_value
        .value_type:      u64
      - .name:            Alpha
        .size:            4
        .offset:          48
        .value_kind:      by_value
        .value_type:      u32
      - .name:            Beta
        .size:            4
        .offset:          52
        .value_kind:      by_value
        .value_type:      u32
      - .name:            StridesD
        .size:            8
        .offset:          56
        .value_kind:      by_value
        .value_type:      u64
      - .name:            StridesC
        .size:            8
        .offset:          64
        .value_kind:      by_value
        .value_type:      u64
      - .name:            StridesA
        .size:            8
        .offset:          72
        .value_kind:      by_value
        .value_type:      u64
      - .name:            StridesB
        .size:            8
        .offset:          80
        .value_kind:      by_value
        .value_type:      u64
      - .name:            SizesFree
        .size:            12
        .offset:          88
        .value_kind:      by_value
        .value_type:      u96
      - .name:            SizesSum
        .size:            4
        .offset:          100
        .value_kind:      by_value
        .value_type:      u32
      - .name:            OrigStaggerUIter
        .size:            4
        .offset:          104
        .value_kind:      by_value
        .value_type:      u32
      - .name:            NumWorkGroups0
        .size:            4
        .offset:          108
        .value_kind:      by_value
        .value_type:      u32
      - .name:            NumWorkGroups1
        .size:            4
        .offset:          112
        .value_kind:      by_value
        .value_type:      u32
    .group_segment_fixed_size:   25600
    .kernarg_segment_align:      8
    .kernarg_segment_size:       120
    .max_flat_workgroup_size:    192
    .private_segment_fixed_size: 0
    .sgpr_count:                 86
    .sgpr_spill_count:           0
    .vgpr_count:                 70
    .vgpr_spill_count:           0
    .wavefront_size:             64
...
.end_amdgpu_metadata
Cijk_Ailk_Bljk_SB_MT48x24x32_SN_APM1_AF0EM1_AF1EM1_AMAS3_ASAE01_ASCE01_ASEM1_BL1_DTLA0_DTLB0_EPS1_FL0_GLVWA2_GLVWB2_GRVW2_GSU4_GSUASB_ISA906_IU1_K1_KLA_LPA0_LPB0_LDL1_LRVW2_MDA2_MMFGLC_NLCA1_NLCB1_ONLL1_PK0_PGR1_PLR1_SU32_SUM0_SUS256_SVW4_SNLL0_TT6_4_USFGRO0_VAW1_VS1_VW2_VWB2_WG8_6_4_WGM1:

/******************************************/
/* Asm syntax workarounds                 */
/******************************************/
.macro _v_add_co_u32 dst:req, cc:req, src0:req, src1:req, dpp=
   v_add_co_u32 \dst, \cc, \src0, \src1 \dpp
.endm

.macro _v_add_u32 dst:req, src0:req, src1:req, dpp=
   v_add_u32 \dst, \src0, \src1 \dpp
.endm

.macro _v_add_i32 dst:req, src0:req, src1:req, dpp=
   v_add_i32 \dst, \src0, \src1 \dpp
.endm

.macro _v_addc_co_u32 dst:req, ccOut:req, src0:req, ccIn:req, src1:req, dpp=
   v_addc_co_u32 \dst, \ccOut, \src0, \ccIn, \src1 \dpp
.endm

.macro _v_sub_co_u32 dst:req, cc:req, src0:req, src1:req, dpp=
   v_sub_co_u32 \dst, \cc, \src0, \src1 \dpp
.endm

.macro _v_sub_u32 dst:req, src0:req, src1:req, dpp=
   v_sub_u32 \dst, \src0, \src1 \dpp
.endm

.macro _v_sub_i32 dst:req, src0:req, src1:req, dpp=
   v_sub_i32 \dst, \src0, \src1 \dpp
.endm

.macro _v_add_lshl_u32 dst:req, src0:req, src1:req, shiftCnt:req
    v_add_lshl_u32 \dst, \src0, \src1, \shiftCnt
.endm

.macro _v_lshl_add_u32 dst:req, src0:req, src1:req, shiftCnt:req
    v_lshl_add_u32 \dst, \src0, \src1, \shiftCnt
.endm

.macro _v_lshl_or_b32 dst:req, src0:req, shiftCnt:req, src1:req
    v_lshl_or_b32 \dst, \src0, \shiftCnt, \src1
.endm

.macro _v_dot2acc_f32_f16 dst, src0, src1
v_dot2c_f32_f16 \dst, \src0, \src1
.endm

.macro _v_cmpx_lt_i16 dst, src0, src1=
   v_cmpx_lt_i16 \dst, \src0, \src1 
.endm

.macro _v_cmpx_lt_i32 dst, src0, src1=
   v_cmpx_lt_i32 \dst, \src0, \src1 
.endm

.macro _v_cmpx_lt_i64 dst, src0, src1=
   v_cmpx_lt_i64 \dst, \src0, \src1 
.endm

.macro _v_cmpx_lt_u16 dst, src0, src1=
   v_cmpx_lt_u16 \dst, \src0, \src1 
.endm

.macro _v_cmpx_lt_u32 dst, src0, src1=
   v_cmpx_lt_u32 \dst, \src0, \src1 
.endm

.macro _v_cmpx_lt_u64 dst, src0, src1=
   v_cmpx_lt_u64 \dst, \src0, \src1 
.endm

.macro _v_cmpx_eq_i16 dst, src0, src1=
   v_cmpx_eq_i16 \dst, \src0, \src1 
.endm

.macro _v_cmpx_eq_i32 dst, src0, src1=
   v_cmpx_eq_i32 \dst, \src0, \src1 
.endm

.macro _v_cmpx_eq_i64 dst, src0, src1=
   v_cmpx_eq_i64 \dst, \src0, \src1 
.endm

.macro _v_cmpx_eq_u16 dst, src0, src1=
   v_cmpx_eq_u16 \dst, \src0, \src1 
.endm

.macro _v_cmpx_eq_u32 dst, src0, src1=
   v_cmpx_eq_u32 \dst, \src0, \src1 
.endm

.macro _v_cmpx_eq_u64 dst, src0, src1=
   v_cmpx_eq_u64 \dst, \src0, \src1 
.endm

.macro _v_cmpx_le_i16 dst, src0, src1=
   v_cmpx_le_i16 \dst, \src0, \src1 
.endm

.macro _v_cmpx_le_i32 dst, src0, src1=
   v_cmpx_le_i32 \dst, \src0, \src1 
.endm

.macro _v_cmpx_le_i64 dst, src0, src1=
   v_cmpx_le_i64 \dst, \src0, \src1 
.endm

.macro _v_cmpx_le_u16 dst, src0, src1=
   v_cmpx_le_u16 \dst, \src0, \src1 
.endm

.macro _v_cmpx_le_u32 dst, src0, src1=
   v_cmpx_le_u32 \dst, \src0, \src1 
.endm

.macro _v_cmpx_le_u64 dst, src0, src1=
   v_cmpx_le_u64 \dst, \src0, \src1 
.endm

.macro _v_cmpx_gt_i16 dst, src0, src1=
   v_cmpx_gt_i16 \dst, \src0, \src1 
.endm

.macro _v_cmpx_gt_i32 dst, src0, src1=
   v_cmpx_gt_i32 \dst, \src0, \src1 
.endm

.macro _v_cmpx_gt_i64 dst, src0, src1=
   v_cmpx_gt_i64 \dst, \src0, \src1 
.endm

.macro _v_cmpx_gt_u16 dst, src0, src1=
   v_cmpx_gt_u16 \dst, \src0, \src1 
.endm

.macro _v_cmpx_gt_u32 dst, src0, src1=
   v_cmpx_gt_u32 \dst, \src0, \src1 
.endm

.macro _v_cmpx_gt_u64 dst, src0, src1=
   v_cmpx_gt_u64 \dst, \src0, \src1 
.endm

.macro _v_cmpx_ne_i16 dst, src0, src1=
   v_cmpx_ne_i16 \dst, \src0, \src1 
.endm

.macro _v_cmpx_ne_i32 dst, src0, src1=
   v_cmpx_ne_i32 \dst, \src0, \src1 
.endm

.macro _v_cmpx_ne_i64 dst, src0, src1=
   v_cmpx_ne_i64 \dst, \src0, \src1 
.endm

.macro _v_cmpx_ne_u16 dst, src0, src1=
   v_cmpx_ne_u16 \dst, \src0, \src1 
.endm

.macro _v_cmpx_ne_u32 dst, src0, src1=
   v_cmpx_ne_u32 \dst, \src0, \src1 
.endm

.macro _v_cmpx_ne_u64 dst, src0, src1=
   v_cmpx_ne_u64 \dst, \src0, \src1 
.endm

.macro _v_cmpx_lg_i16 dst, src0, src1=
   v_cmpx_lg_i16 \dst, \src0, \src1 
.endm

.macro _v_cmpx_lg_i32 dst, src0, src1=
   v_cmpx_lg_i32 \dst, \src0, \src1 
.endm

.macro _v_cmpx_lg_i64 dst, src0, src1=
   v_cmpx_lg_i64 \dst, \src0, \src1 
.endm

.macro _v_cmpx_lg_u16 dst, src0, src1=
   v_cmpx_lg_u16 \dst, \src0, \src1 
.endm

.macro _v_cmpx_lg_u32 dst, src0, src1=
   v_cmpx_lg_u32 \dst, \src0, \src1 
.endm

.macro _v_cmpx_lg_u64 dst, src0, src1=
   v_cmpx_lg_u64 \dst, \src0, \src1 
.endm

.macro _v_cmpx_ge_i16 dst, src0, src1=
   v_cmpx_ge_i16 \dst, \src0, \src1 
.endm

.macro _v_cmpx_ge_i32 dst, src0, src1=
   v_cmpx_ge_i32 \dst, \src0, \src1 
.endm

.macro _v_cmpx_ge_i64 dst, src0, src1=
   v_cmpx_ge_i64 \dst, \src0, \src1 
.endm

.macro _v_cmpx_ge_u16 dst, src0, src1=
   v_cmpx_ge_u16 \dst, \src0, \src1 
.endm

.macro _v_cmpx_ge_u32 dst, src0, src1=
   v_cmpx_ge_u32 \dst, \src0, \src1 
.endm

.macro _v_cmpx_ge_u64 dst, src0, src1=
   v_cmpx_ge_u64 \dst, \src0, \src1 
.endm

.macro _v_cmpx_o_i16 dst, src0, src1=
   v_cmpx_o_i16 \dst, \src0, \src1 
.endm

.macro _v_cmpx_o_i32 dst, src0, src1=
   v_cmpx_o_i32 \dst, \src0, \src1 
.endm

.macro _v_cmpx_o_i64 dst, src0, src1=
   v_cmpx_o_i64 \dst, \src0, \src1 
.endm

.macro _v_cmpx_o_u16 dst, src0, src1=
   v_cmpx_o_u16 \dst, \src0, \src1 
.endm

.macro _v_cmpx_o_u32 dst, src0, src1=
   v_cmpx_o_u32 \dst, \src0, \src1 
.endm

.macro _v_cmpx_o_u64 dst, src0, src1=
   v_cmpx_o_u64 \dst, \src0, \src1 
.endm

.macro _v_cmpx_u_i16 dst, src0, src1=
   v_cmpx_u_i16 \dst, \src0, \src1 
.endm

.macro _v_cmpx_u_i32 dst, src0, src1=
   v_cmpx_u_i32 \dst, \src0, \src1 
.endm

.macro _v_cmpx_u_i64 dst, src0, src1=
   v_cmpx_u_i64 \dst, \src0, \src1 
.endm

.macro _v_cmpx_u_u16 dst, src0, src1=
   v_cmpx_u_u16 \dst, \src0, \src1 
.endm

.macro _v_cmpx_u_u32 dst, src0, src1=
   v_cmpx_u_u32 \dst, \src0, \src1 
.endm

.macro _v_cmpx_u_u64 dst, src0, src1=
   v_cmpx_u_u64 \dst, \src0, \src1 
.endm
.macro _v_mac_f32 c:req, a:req, b:req
    v_fmac_f32 \c, \a, \b
.endmacro

/* scale global load macros */
.macro _s_load_b32 dst base offset
    s_load_dword \dst \base \offset
.endm

.macro _s_load_b64 dst base offset
    s_load_dwordx2 \dst \base \offset
.endm

.macro _s_load_b128 dst base offset
    s_load_dwordx4 \dst \base \offset
.endm

.macro _s_load_b256 dst base offset
    s_load_dwordx8 \dst \base \offset
.endm

.macro _s_load_b512 dst base offset
    s_load_dwordx16 \dst \base \offset
.endm


/* ds operation macros */
.macro _ds_load_u8 dst src offset
    ds_read_u8 \dst \src \offset
.endm

.macro _ds_load_u8_d16_hi dst src offset
    ds_read_u8_d16_hi \dst \src \offset
.endm

.macro _ds_load_u16 dst src offset
    ds_read_u16 \dst \src \offset
.endm

.macro _ds_load_u16_d16_hi dst src offset
    ds_read_u16_d16_hi \dst \src \offset
.endm

.macro _ds_load_b32 dst src offset
    ds_read_b32 \dst \src \offset
.endm

.macro _ds_load_b64 dst src offset
    ds_read_b64 \dst \src \offset
.endm

.macro _ds_load_b128 dst src offset
    ds_read_b128 \dst \src \offset
.endm

.macro _ds_store_b8 dst src offset
    ds_write_b8 \dst \src \offset
.endm

.macro _ds_store_b8_d16_hi dst src offset
    ds_write_b8_d16_hi \dst \src \offset
.endm

.macro _ds_store_b16 dst src offset
    ds_write_b16 \dst \src \offset
.endm

.macro _ds_store_b16_d16_hi dst src offset
    ds_write_b16_d16_hi \dst \src \offset
.endm

.macro _ds_store_b32 dst src offset
    ds_write_b32 \dst \src \offset
.endm

.macro _ds_store_b64 dst src offset
    ds_write_b64 \dst \src \offset
.endm

.macro _ds_store_b128 dst src offset
    ds_write_b128 \dst \src \offset
.endm

.macro _ds_load2_b32 dst src offset1 offset2
    ds_read2_b32 \dst \src \offset1 \offset2
.endm

.macro _ds_load2_b64 dst src offset1 offset2
    ds_read2_b64 \dst \src \offset1 \offset2
.endm

.macro _ds_store2_b32 dst src offset1 offset2
    ds_write2_b32 \dst \src \offset1 \offset2
.endm

.macro _ds_store2_b64 dst src offset1 offset2
    ds_write2_b64 \dst \src \offset1 \offset2
.endm


/* buffer memory operation macros */
.macro _buffer_load_b32 dst voffset base soffset offen ioffset md0 md1 md2
    buffer_load_dword \dst \voffset \base \soffset \offen \ioffset \md0 \md1 \md2
.endm

.macro _buffer_load_b64 dst voffset base soffset offen ioffset md0 md1 md2
    buffer_load_dwordx2 \dst \voffset \base \soffset \offen \ioffset \md0 \md1 \md2
.endm

.macro _buffer_load_b96 dst voffset base soffset offen ioffset md0 md1 md2
    buffer_load_dwordx3 \dst \voffset \base \soffset \offen \ioffset \md0 \md1 \md2
.endm

.macro _buffer_load_b128 dst voffset base soffset offen ioffset md0 md1 md2
    buffer_load_dwordx4 \dst \voffset \base \soffset \offen \ioffset \md0 \md1 \md2
.endm

.macro _buffer_load_d16_b16 dst voffset base soffset offen ioffset md0 md1 md2
    buffer_load_short_d16 \dst \voffset \base \soffset \offen \ioffset \md0 \md1 \md2
.endm

.macro _buffer_load_d16_hi_b16 dst voffset base soffset offen ioffset md0 md1 md2
    buffer_load_short_d16_hi \dst \voffset \base \soffset \offen \ioffset \md0 \md1 \md2
.endm

.macro _buffer_load_d16_u8 dst voffset base soffset offen ioffset md0 md1 md2
    buffer_load_ubyte_d16 \dst \voffset \base \soffset \offen \ioffset \md0 \md1 \md2
.endm

.macro _buffer_load_d16_hi_u8 dst voffset base soffset offen ioffset md0 md1 md2
    buffer_load_ubyte_d16_hi \dst \voffset \base \soffset \offen \ioffset \md0 \md1 \md2
.endm

.macro _buffer_load_u16 dst voffset base soffset offen ioffset md0 md1 md2
    buffer_load_ushort \dst \voffset \base \soffset \offen \ioffset \md0 \md1 \md2
.endm

.macro _buffer_load_b32_dtl voffset base soffset offen ioffset md0 md1 md2
    buffer_load_dword \voffset \base \soffset \offen \ioffset \md0 \md1 \md2
.endm

.macro _buffer_load_b64_dtl voffset base soffset offen ioffset md0 md1 md2
    buffer_load_dwordx2 \voffset \base \soffset \offen \ioffset \md0 \md1 \md2
.endm

.macro _buffer_load_b128_dtl voffset base soffset offen ioffset md0 md1 md2
    buffer_load_dwordx4 \voffset \base \soffset \offen \ioffset \md0 \md1 \md2
.endm

.macro _buffer_load_u16_dtl voffset base soffset offen ioffset md0 md1 md2
    buffer_load_ushort \voffset \base \soffset \offen \ioffset \md0 \md1 \md2
.endm

.macro _buffer_store_b32 src voffset base soffset offen ioffset md0 md1 md2
    buffer_store_dword \src \voffset \base \soffset \offen \ioffset \md0 \md1 \md2
.endm

.macro _buffer_store_b64 src voffset base soffset offen ioffset md0 md1 md2
    buffer_store_dwordx2 \src \voffset \base \soffset \offen \ioffset \md0 \md1 \md2
.endm

.macro _buffer_store_b96 src voffset base soffset offen ioffset md0 md1 md2
    buffer_store_dwordx3 \src \voffset \base \soffset \offen \ioffset \md0 \md1 \md2
.endm

.macro _buffer_store_b128 src voffset base soffset offen ioffset md0 md1 md2
    buffer_store_dwordx4 \src \voffset \base \soffset \offen \ioffset \md0 \md1 \md2
.endm

.macro _buffer_store_b16 src voffset base soffset offen ioffset md0 md1 md2
    buffer_store_short \src \voffset \base \soffset \offen \ioffset \md0 \md1 \md2
.endm

.macro _buffer_store_d16_hi_b16 src voffset base soffset offen ioffset md0 md1 md2
    buffer_store_short_d16_hi \src \voffset \base \soffset \offen \ioffset \md0 \md1 \md2
.endm

.macro _buffer_store_b8 src voffset base soffset offen ioffset md0 md1 md2
    buffer_store_byte \src \voffset \base \soffset \offen \ioffset \md0 \md1 \md2
.endm

.macro _buffer_store_d16_hi_b8 src voffset base soffset offen ioffset md0 md1 md2
    buffer_store_byte_d16_hi \src \voffset \base \soffset \offen \ioffset \md0 \md1 \md2
.endm

.macro _buffer_atomic_cmpswap_b32 dst voffset base soffset offen ioffset md0 md1 md2
    buffer_atomic_cmpswap \dst \voffset \base \soffset \offen \ioffset \md0 \md1 \md2
.endm

.macro _buffer_atomic_cmpswap_b64 dst voffset base soffset offen ioffset md0 md1 md2
    buffer_atomic_cmpswap_x2 \dst \voffset \base \soffset \offen \ioffset \md0 \md1 \md2
.endm


/* buffer memory operation macros */
.macro _global_load_b32 dst base src ioffset md0 md1 md2
    global_load_dword \dst \base \src \ioffset \md0 \md1 \md2
.endm

.macro _global_load_b64 dst base src ioffset md0 md1 md2
    global_load_dwordx2 \dst \base \src \ioffset \md0 \md1 \md2
.endm

.macro _global_load_b96 dst base src ioffset md0 md1 md2
    global_load_dwordx3 \dst \base \src \ioffset \md0 \md1 \md2
.endm

.macro _global_load_b128 dst base src ioffset md0 md1 md2
    global_load_dwordx4 \dst \base \src \ioffset \md0 \md1 \md2
.endm

.macro _global_load_d16_b16 dst base src ioffset md0 md1 md2
    global_load_short_d16 \dst \base \src \ioffset \md0 \md1 \md2
.endm

.macro _global_load_d16_hi_b16 dst base src ioffset md0 md1 md2
    global_load_short_d16_hi \dst \base \src \ioffset \md0 \md1 \md2
.endm

.macro _global_load_d16_u8 dst base src ioffset md0 md1 md2
    global_load_ubyte_d16 \dst \base \src \ioffset \md0 \md1 \md2
.endm

.macro _global_load_d16_hi_u8 dst base src ioffset md0 md1 md2
    global_load_ubyte_d16_hi \dst \base \src \ioffset \md0 \md1 \md2
.endm

.macro _global_load_u16 dst base src ioffset md0 md1 md2
    global_load_ushort \dst \base \src \ioffset \md0 \md1 \md2
.endm

.macro _global_store_b32 base src src2 md0 md1 md2
    global_store_dword \base \src \src2 \md0 \md1 \md2
.endm

.macro _global_store_b64 base src src2 md0 md1 md2
    global_store_dwordx2 \base \src \src2 \md0 \md1 \md2
.endm

.macro _global_store_b96 base src src2 md0 md1 md2
    global_store_dwordx3 \base \src \src2 \md0 \md1 \md2
.endm

.macro _global_store_b128 base src src2 md0 md1 md2
    global_store_dwordx4 \base \src \src2 \md0 \md1 \md2
.endm

.macro _global_store_d16_b16 base src src2 md0 md1 md2
    global_store_short \base \src \src2 \md0 \md1 \md2
.endm

.macro _global_store_d16_hi_b16 base src src2 md0 md1 md2
    global_store_short_d16_hi \base \src \src2 \md0 \md1 \md2
.endm

.macro _global_store_d16_u8 base src src2 md0 md1 md2
    global_store_ubyte_d16 \base \src \src2 \md0 \md1 \md2
.endm

.macro _global_store_d16_hi_u8 base src src2 md0 md1 md2
    global_store_ubyte_d16_hi \base \src \src2 \md0 \md1 \md2
.endm

.macro _global_store_u16 base src src2 md0 md1 md2
    global_store_ushort \base \src \src2 \md0 \md1 \md2
.endm

.macro _global_atomic_cmpswap_b32 tmp base data src ioffset md
    global_atomic_cmpswap \tmp \base \data \src \ioffset \md
.endm

.macro _global_atomic_cmpswap_b64 tmp base data src ioffset md
    global_atomic_cmpswap_x2 \tmp \base \data \src \ioffset \md
.endm


/******************************************/
/* Magic div and mod functions            */
/******************************************/
.macro V_MAGIC_DIV dstIdx:req, dividend:req, magicNumber:req, magicShift:req, magicA:req
    v_mul_hi_u32 v[\dstIdx+1], \dividend, \magicNumber
    v_mul_lo_u32 v[\dstIdx+0], \dividend, \magicA
    _v_add_u32 v[\dstIdx+0], v[\dstIdx+0], v[\dstIdx+1]
    v_lshrrev_b32 v[\dstIdx+0], \magicShift, v[\dstIdx+0]
.endm

/******************************************/
/* VGPR Assignments                       */
/******************************************/
/* ValuC range: [0-24),  */
.set vgprValuC, 0
/* ValuA/B   Xn=PLR buffer idx,  In=InnerUnroll idx */
.set vgprValuA_X0_I0, 24
.set vgprValuA_X1_I0, 30
.set vgprG2LA, 52
.set vgprValuB_X0_I0, 36
.set vgprValuB_X1_I0, 40
.set vgprG2LB, 60
.set vgprLocalWriteAddrA, 44
.set vgprLocalWriteAddrB, 45
.set vgprGlobalReadOffsetA, 46
.set vgprGlobalReadOffsetB, 50
.set vgprLocalReadAddrA, 64
.set vgprLocalReadAddrB, 65
.set vgprSerial, 66
/* Num VGPR=70 */
/* Num AccVGPR=0 */

/******************************************/
/* SGPR Assignments                       */
/******************************************/
.set sgprKernArgAddress, 0 // (2)
.set sgprWorkGroup0, 2 // (1)
.set sgprWorkGroup1, 3 // (1)
.set sgprWorkGroup2, 4 // (1)
.set sgprGSUSumIdx, 5 // (2)
.set sgprLoopCounterL, 7 // (1)
.set sgprOrigLoopCounter, 8 // (1)
.set sgprSrdA, 12 // (4)
.set sgprSrdB, 16 // (4)
.set sgprSrdD, 20 // (4)
.set sgprSrdC, 24 // (4)
.set sgprTensor2dSizeA, 28 // (2)
.set sgprTensor2dSizeB, 30 // (2)
.set sgprAddressD, 32 // (2)
.set sgprAddressC, 34 // (2)
.set sgprAddressA, 36 // (2)
.set sgprAddressB, 38 // (2)
.set sgprAlpha, 40 // (1)
.set sgprBeta, 41 // (1)
.set sgprStridesD, 42 // (2)
.set sgprStridesC, 44 // (2)
.set sgprStridesA, 46 // (2)
.set sgprStridesB, 48 // (2)
.set sgprSizesFree, 50 // (3)
.set sgprSizesSum, 53 // (1)
.set sgprOrigStaggerUIter, 54 // (1)
.set sgprNumWorkGroups0, 55 // (1)
.set sgprNumWorkGroups1, 56 // (1)
.set sgprShadowLimitA, 0 // (2)
.set sgprShadowLimitB, 32 // (2)
.set sgprStaggerUIter, 9 // (1)
.set sgprWrapUA, 34 // (2)
.set sgprWrapUB, 36 // (2)
.set sgprGlobalReadIncsA, 38 // (1)
.set sgprGlobalReadIncsB, 39 // (1)
/* max SGPR=86 */

/* Size Assignments */
.set sgprSizeI, sgprSizesFree+0
.set sgprSizeJ, sgprSizesFree+1
.set sgprSizeK, sgprSizesFree+2
.set sgprSizeL, sgprSizesSum+0

/* Stride Assignments */
.set constStrideD0I, 1
.set sgprStrideD1J, sgprStridesD+0
.set sgprStrideDK, sgprStridesD+1
.set constStrideC0I, 1
.set sgprStrideC1J, sgprStridesC+0
.set sgprStrideCK, sgprStridesC+1
.set constStrideA0I, 1
.set sgprStrideAL, sgprStridesA+0
.set sgprStrideAK, sgprStridesA+1
.set constStrideBL, 1
.set sgprStrideB1J, sgprStridesB+0
.set sgprStrideBK, sgprStridesB+1

.set MT0, 48
.set MT1, 24
.set DepthU, 32
.set GSU, 4
.set BpeA, 4
.set BpeALog2, 2
.set BpeB, 4
.set BpeBLog2, 2
/* Number of elements to shift-left SRD */
.set SrdShiftLeftA, 2
.set SrdShiftLeftB, 2
/* 2GB limit - set offsets to -1 to exceed this and clamp */
.set BufferLimitA, 0xffffffff
.set BufferLimitB, 0xffffffff
.set BufferOOB, 0xfffff000

/******************************************/
/* Bits 127:96 of SRD.                    */
/* hex: 0x00020000                        */
/* dst_sel_x (3b): 0                      */
/* dst_sel_y (3b): 0                      */
/* dst_sel_z (3b): 0                      */
/* dst_sel_w (3b): 0                      */
/* num_format (3b): 0                     */
/* data_format (4b): 4                    */
/* user_vm_enable (1b): 0                 */
/* user_vm_mode (1b): 0                   */
/* index_stride (2b): 0                   */
/* add_tid_enable (1b): 0                 */
/* _unusedA (3b): 0                       */
/* nv (1b): 0                             */
/* _unusedB (2b): 0                       */
/* type (2b): 0                           */
/******************************************/
.set Srd127_96, 0x00020000

/* Global Offset A */
.macro GLOBAL_OFFSET_A vgprAddr:req vgprOffset0I:req vgprOffsetL:req vgprTmp:req
v_mul_lo_u32 v[\vgprTmp+0], s[sgprStrideAL], v[\vgprOffsetL] // mul d1 lower
_v_add_co_u32 v[\vgprAddr+0], vcc, v[\vgprOffset0I], v[\vgprTmp+0] // accumulate K lower
_v_add_u32 v[\vgprAddr+0], 0x2, v[\vgprAddr+0]     // add prepad for pointer shift
v_lshlrev_b32 v[\vgprAddr+0], 0x2, v[\vgprAddr+0]  // offset *= bytes/element
.endm

/* Global Offset B */
.macro GLOBAL_OFFSET_B vgprAddr:req vgprOffsetL:req vgprOffset1J:req vgprTmp:req
v_mul_lo_u32 v[\vgprTmp+0], s[sgprStrideB1J], v[\vgprOffset1J] // mul d1 lower
_v_add_co_u32 v[\vgprAddr+0], vcc, v[\vgprOffsetL], v[\vgprTmp+0] // accumulate K lower
_v_add_u32 v[\vgprAddr+0], 0x2, v[\vgprAddr+0]     // add prepad for pointer shift
v_lshlrev_b32 v[\vgprAddr+0], 0x2, v[\vgprAddr+0]  // offset *= bytes/element
.endm

/******************************************/
/* Dynamic Scalar Divide: vQuotient=vDividend/vDivisor; vRemainder=vDividend%vDivisor; */
/******************************************/
.macro DYNAMIC_VECTOR_DIVIDE vQuotient vRemainder vDividend vDivisor vTmp0 vTmp1 sTmp
v_cvt_f32_u32 v[\vQuotient], v[\vDivisor]          // 
v_rcp_f32 v[\vQuotient], v[\vQuotient]             // 
v_mul_f32 v[\vQuotient], 0x4f800000, v[\vQuotient] // 
v_cvt_u32_f32 v[\vQuotient], v[\vQuotient]         // 
v_mul_lo_u32 v[\vRemainder], v[\vDivisor], v[\vQuotient] // 
v_mul_hi_u32 v[\vTmp0], v[\vDivisor], v[\vQuotient] // 
_v_sub_co_u32 v[\vTmp1], vcc, 0x0, v[\vRemainder]  // 
v_cmp_ne_i32 s[\sTmp:\sTmp+1], 0x0, v[\vTmp0]      // 
v_cndmask_b32 v[\vRemainder], v[\vTmp1], v[\vRemainder], s[\sTmp:\sTmp+1] // 
v_mul_hi_u32 v[\vRemainder], v[\vRemainder], v[\vQuotient] // 
_v_sub_co_u32 v[\vTmp0], vcc, v[\vQuotient], v[\vRemainder] // 
_v_add_co_u32 v[\vQuotient], vcc, v[\vQuotient], v[\vRemainder] // 
v_cndmask_b32 v[\vQuotient], v[\vQuotient], v[\vTmp0], s[\sTmp:\sTmp+1] // 
v_mul_hi_u32 v[\vQuotient], v[\vQuotient], v[\vDividend] // 
v_mul_lo_u32 v[\vRemainder], v[\vQuotient], v[\vDivisor] // 
_v_sub_co_u32 v[\vTmp0], vcc, v[\vDividend], v[\vRemainder] // 
v_cmp_ge_u32 s[\sTmp:\sTmp+1], v[\vDividend], v[\vRemainder] // 
_v_add_co_u32 v[\vRemainder], vcc, 0x1, v[\vQuotient] // 
_v_add_co_u32 v[\vTmp1], vcc, -1, v[\vQuotient]    // 
v_cmp_le_u32 vcc, v[\vDivisor], v[\vTmp0]          // 
s_and_b64 vcc, s[\sTmp:\sTmp+1], vcc               // 
v_cndmask_b32 v[\vQuotient], v[\vQuotient], v[\vRemainder], vcc // 
v_cndmask_b32 v[\vQuotient], v[\vTmp1], v[\vQuotient], s[\sTmp:\sTmp+1] // 
v_cmp_ne_i32 vcc, 0x0, v[\vDivisor]                // 
v_cndmask_b32 v[\vQuotient], -1, v[\vQuotient], vcc // final result
v_mul_lo_u32 v[\vRemainder], v[\vQuotient], v[\vDivisor] // 
_v_sub_co_u32 v[\vRemainder], vcc, v[\vDividend], v[\vRemainder] // final result
.endm

/******************************************/
/* 6x4 thread-tile                        */
/******************************************/
.macro MAC_6x4_X0
// Component.MAC.MAC_F32_Plain
v_fmac_f32 v[vgprValuC + 0 + 0*6], v[vgprValuA_X0_I0 + 0], v[vgprValuB_X0_I0 + 0]
s_setprio 1 // Raise priority while processing macs
v_fmac_f32 v[vgprValuC + 1 + 0*6], v[vgprValuA_X0_I0 + 1], v[vgprValuB_X0_I0 + 0]
v_fmac_f32 v[vgprValuC + 2 + 0*6], v[vgprValuA_X0_I0 + 2], v[vgprValuB_X0_I0 + 0]
	;; [unrolled: 1-line block ×23, first 2 shown]
s_setprio 0 // Reset priority after macs
.endm
.macro MAC_6x4_X1
// Component.MAC.MAC_F32_Plain
v_fmac_f32 v[vgprValuC + 0 + 0*6], v[vgprValuA_X1_I0 + 0], v[vgprValuB_X1_I0 + 0]
s_setprio 1 // Raise priority while processing macs
v_fmac_f32 v[vgprValuC + 1 + 0*6], v[vgprValuA_X1_I0 + 1], v[vgprValuB_X1_I0 + 0]
v_fmac_f32 v[vgprValuC + 2 + 0*6], v[vgprValuA_X1_I0 + 2], v[vgprValuB_X1_I0 + 0]
	;; [unrolled: 1-line block ×23, first 2 shown]
s_setprio 0 // Reset priority after macs
.endm


	;; [unrolled: 1-line block ×3, first 2 shown]
/******************************************/
/* Allocate Resources                     */
/******************************************/

Cijk_Ailk_Bljk_SB_MT48x24x32_SN_APM1_AF0EM1_AF1EM1_AMAS3_ASAE01_ASCE01_ASEM1_BL1_DTLA0_DTLB0_EPS1_FL0_GLVWA2_GLVWB2_GRVW2_GSU4_GSUASB_ISA906_IU1_K1_KLA_LPA0_LPB0_LDL1_LRVW2_MDA2_MMFGLC_NLCA1_NLCB1_ONLL1_PK0_PGR1_PLR1_SU32_SUM0_SUS256_SVW4_SNLL0_TT6_4_USFGRO0_VAW1_VS1_VW2_VWB2_WG8_6_4_WGM1_preloaded: // Kernel start when preloading

/* Load Kernel Args */
_s_load_b512 s[28:43], s[sgprKernArgAddress:sgprKernArgAddress+1], 0x0 // 
_s_load_b256 s[44:51], s[sgprKernArgAddress:sgprKernArgAddress+1], 0x40 // 
_s_load_b128 s[52:55], s[sgprKernArgAddress:sgprKernArgAddress+1], 0x60 // 
_s_load_b32 s56, s[sgprKernArgAddress:sgprKernArgAddress+1], 0x70 // 
s_mov_b32 m0, 0x6400                               // LDS clamp at 25600 bytes
v_mov_b32 v[vgprSerial], v0                        // thread serial id

/******************************************/
/* Local Read Addresses                   */
/******************************************/


/* local read addresses: tile assignments a/b */

/*lr0I = serial % SG0I*/
v_lshrrev_b32 v0, 3, v[vgprSerial]                 // v0 = v[vgprSerial] / 8
v_and_b32 v1, 7, v[vgprSerial]                     // v1 = v[vgprSerial] % 8
/*lr1J = (serial / SG1J) % SG1J*/
s_mov_b32 s9, 0x55555556                           // v2 = v0 / 6
v_mul_hi_u32 v2, v0, s9                            // v2 = v0 / 6
v_lshrrev_b32 v2, 0x1, v2                          // v2 = v0 / 6
s_mov_b32 s9, 0x6                                  // v3 = v0 % 6
v_mul_lo_u32 v3, v2, s9                            // v3 = v0 % 6
_v_sub_u32 v3, v0, v3                              // v3 = v0 % 6


/* local read addresses: final offsets a */

s_mov_b32 s9, 0xaaaaaab                            // LSU offset: sgid = Serial / subGroup(48)
v_mul_hi_u32 v0, v[vgprSerial], s9                 // LSU offset: sgid = Serial / subGroup(48)
v_lshrrev_b32 v0, 0x1, v0                          // LSU offset: sgid = Serial / subGroup(48)
s_mov_b32 s9, 0x30                                 // LSU offset: lsuoffset = sgid*(MT0+PAD)
v_mul_lo_u32 v0, s9, v0                            // LSU offset: lsuoffset = sgid*(MT0+PAD)
v_lshlrev_b32 v1, 0x1, v1                          // Final Offset: lrAOffset * VW
_v_add_lshl_u32 v[vgprLocalReadAddrA], v0, v1, 0x2 // Final Offset: offset = (lro0*VW+lsuoffset)*bpe


/* local read addresses: final offsets b */

s_mov_b32 s9, 0xaaaaaab                            // LSU offset: sgid = Serial / subGroup(48)
v_mul_hi_u32 v0, v[vgprSerial], s9                 // LSU offset: sgid = Serial / subGroup(48)
v_lshrrev_b32 v0, 0x1, v0                          // LSU offset: sgid = Serial / subGroup(48)
s_mov_b32 s9, 0x18                                 // LSU offset: lsuoffset = sgid*(MT1+PAD)
v_mul_lo_u32 v0, s9, v0                            // LSU offset: lsuoffset = sgid*(MT1+PAD)
v_lshlrev_b32 v3, 0x1, v3                          // Final Offset: lrBOffset * VW
_v_add_lshl_u32 v[vgprLocalReadAddrB], v0, v3, 0x2 // Final Offset: offset = (lro1*VW+lsuoffset)*bpe


/* local read addresses: declare addresses a */

/* N/A */


/* local read addresses: declare addresses b */

_v_add_co_u32 v[vgprLocalReadAddrB+0], vcc, 0x1800, v[vgprLocalReadAddrB+0] //  += LdsOffsetB (lower)


/* global read addresses: tile offset assignment a */

/* LVCA = 24 */
/* v0 = (local)groA-tile = serial%LVCA (note (wgA*MTA) will be added to SRD) */
/* v1 = groA-unroll = serial/LVCA */
s_mov_b32 s10, 0x15555556                          // v1 = v[vgprSerial] / 24
v_mul_hi_u32 v1, v[vgprSerial], s10                // v1 = v[vgprSerial] / 24
v_lshrrev_b32 v1, 0x1, v1                          // v1 = v[vgprSerial] / 24
s_mov_b32 s10, 0x18                                // v0 = v[vgprSerial] % 24
v_mul_lo_u32 v0, v1, s10                           // v0 = v[vgprSerial] % 24
_v_sub_u32 v0, v[vgprSerial], v0                   // v0 = v[vgprSerial] % 24
/* gro-tile *= glvw */
v_lshlrev_b32 v0, 0x1, v0                          // v0 = v0 * 2
v_mov_b32 v2, v1                                   // copy for GlobalSplitU


/* global read addresses: tile offset assignment b */

/* LVCB = 16 */
/* v3 = (local)groB-tile = serial/LVCB (note (wgB*MTB) will be added to SRD) */
/* v4 = groB-unroll = serial%LVCB */
v_lshrrev_b32 v3, 4, v[vgprSerial]                 // v3 = v[vgprSerial] / 16
v_and_b32 v4, 15, v[vgprSerial]                    // v4 = v[vgprSerial] % 16
/* gro-unroll *= glvw */
v_lshlrev_b32 v4, 0x1, v4                          // v4 = v4 * 2
v_mov_b32 v5, v4                                   // copy for GlobalSplitU


/******************************************/
/* Local Write Addresses                  */
/******************************************/

/* lwaTileAssignmentA = v0 */

/* lwaTileAssignmentB = v3 */

/* lwaUnrollAssignmentA = v2 */

/* lwaUnrollAssignmentB = v5 */


/* local write addresses: first offset a */

v_mul_u32_u24 v[vgprLocalWriteAddrA], 0x30, v2     // lwAL**(MTA + PAD)
_v_add_lshl_u32 v[vgprLocalWriteAddrA], v0, v[vgprLocalWriteAddrA], 0x2 // lwFOA = (lwAA + lwAL*(MT0I+PAD))*bpe


/* local write addresses: first offset b */

v_mul_u32_u24 v[vgprLocalWriteAddrB], 0x18, v5     // lwBL**(MTB + PAD)
_v_add_lshl_u32 v[vgprLocalWriteAddrB], v3, v[vgprLocalWriteAddrB], 0x2 // lwFOB = (lwBB + lwBL*(MT1J+PAD))*bpe
_v_add_co_u32 v[vgprLocalWriteAddrB], vcc, 0x1800, v[vgprLocalWriteAddrB] // lwFOB = lwB1J + lwBL*MT1J + LDS_OFFSET_B=1536*4


	;; [unrolled: 1-line block ×7, first 2 shown]
s_waitcnt lgkmcnt(0)                               // wait for 116 bytes of kern args
s_mov_b64 s[sgprSrdC+0:sgprSrdC+0+1], s[sgprAddressC+0:sgprAddressC+0+1] // copy addressC
s_mov_b64 s[sgprSrdD+0:sgprSrdD+0+1], s[sgprAddressD+0:sgprAddressD+0+1] // copy addressD
s_sub_u32 s[sgprSrdA+0], s[sgprAddressA+0], 8      // pre-pad to make room for possible pointer shift
s_subb_u32 s[sgprSrdA+1], s[sgprAddressA+1], 0     // pre-pad to make room for possible pointer shift
s_sub_u32 s[sgprSrdB+0], s[sgprAddressB+0], 8      // pre-pad to make room for possible pointer shift
s_subb_u32 s[sgprSrdB+1], s[sgprAddressB+1], 0     // pre-pad to make room for possible pointer shift

.set AddressD, UNDEF
.set AddressC, UNDEF
.set AddressA, UNDEF
.set AddressB, UNDEF

/* Short circuit condition if Alpha == 0, then sumDims=0 */
v_cmp_eq_f32 vcc, s[sgprAlpha], 0.0                // Alpha == 0.0f ?
s_cbranch_vccz label_AlphaNonZero                  // branch if alpha != 0
s_mov_b32 s[sgprSizesSum+0], 0x0                   // Set summation dim=0 if Alpha == 0
label_AlphaNonZero:


	;; [unrolled: 1-line block ×3, first 2 shown]
/******************************************/
/* Begin setupNewTile, isPap=False           */
/******************************************/


/* global read addresses: work-group */

/* graWorkGroup mapping */
// GSU-not-WGMapRR :nwg1 = (size1J + MT1J - 1) / MT1J;
s_mov_b32 s60, s[sgprWorkGroup1]                   // copying for divisor
s_lshr_b32 s[sgprWorkGroup1], s60, 2               // s[sgprWorkGroup1] = s60 / 4
s_and_b32 s[sgprGSUSumIdx], 3, s60                 // s[sgprGSUSumIdx] = s60 % 4


/* global read addresses: unroll assignment a */

/* v1 */


/* global read addresses: unroll assignment b */

/* v4 */


/* global read addresses: other free assignments */

/* s[sgprWorkGroup2] */


/* global read addresses: tile offsets a */

v_mov_b32 v6, v0                                   // groA0I_0


/* global read addresses: tile offsets b */

v_mov_b32 v7, v3                                   // groB1J_0
_v_add_co_u32 v8, vcc, 12, v7                      // groB1J_1 += LSPB


/* global read addresses: unroll offsets a */

v_mov_b32 v9, v1                                   // groAL_0
_v_add_co_u32 v10, vcc, 8, v9                      // groAL_1 + LSPA
_v_add_co_u32 v11, vcc, 8, v10                     // groAL_2 + LSPA
_v_add_co_u32 v12, vcc, 8, v11                     // groAL_3 + LSPA


/* global read addresses: unroll offsets b */

v_mov_b32 v13, v4                                  // groBL_0


/* global read addresses: shift a */

s_mul_i32 s57, s[sgprWorkGroup0], 48               // WorkGroup[01] * MT
s_sub_u32 s57, s[sgprSizeI], s57                   // edge = Size0I - WG*MT
s_sub_u32 s57, s57, 2                              // edge -= margin(2)
v_mov_b32 v14, s57                                 // edge vgpr = Size0I- WG*MT - margin(2)
v_min_i32 v6, v14, v6                              // offset = (offset < edge) ? offset(v6) : edge(v14)


/* global read addresses: final offsets a */

GLOBAL_OFFSET_A vgprGlobalReadOffsetA+0,  6,  9, 14 // gROA_0_0_0_0
GLOBAL_OFFSET_A vgprGlobalReadOffsetA+1,  6, 10, 14 // gROA_0_0_1_0
GLOBAL_OFFSET_A vgprGlobalReadOffsetA+2,  6, 11, 14 // gROA_0_0_2_0
GLOBAL_OFFSET_A vgprGlobalReadOffsetA+3,  6, 12, 14 // gROA_0_0_3_0


/* global read addresses: final offsets b */

GLOBAL_OFFSET_B vgprGlobalReadOffsetB+0, 13,  7, 9 // gROB_0_0_0_0
GLOBAL_OFFSET_B vgprGlobalReadOffsetB+1, 13,  8, 9 // gROB_0_0_1_0


/* global read addresses: addresses a */

/* max read offset = size[n] * stride[n-1] */
s_mul_hi_u32 s61, s[sgprWorkGroup0], 48            // WorkGroup[01] * MT
s_mul_i32 s60, s[sgprWorkGroup0], 48               // WorkGroup[01] * MT
s_mul_hi_u32 s59, 32, s[sgprGSUSumIdx]             // gsuOffset = DepthU*bpe*GSUSumIdx
s_mul_i32 s58, 32, s[sgprGSUSumIdx]                // gsuOffset = DepthU*bpe*GSUSumIdx
s_mul_hi_u32 s59, s58, s[sgprStrideAL]             // tlu=1, scaled unroll-offset by stride
s_mul_i32 s58, s58, s[sgprStrideAL]                // tlu=1, scaled unroll-offset by stride
s_add_u32 s60, s60, s58                            // accum GsuOffset term to tilestart
s_addc_u32 s61, s61, s59                           // accum GsuOffset term to tilestart
s_sub_u32 s[sgprShadowLimitA+0], s[sgprTensor2dSizeA], s60 // sub tileStart
s_subb_u32 s[sgprShadowLimitA+1], s[sgprTensor2dSizeA+1], s61 // sub tileStart
s_lshl_b64 s[sgprShadowLimitA:sgprShadowLimitA+1], s[sgprShadowLimitA:sgprShadowLimitA+1], 0x2 // Set limit to use bytes
s_add_u32 s[sgprShadowLimitA+0], s[sgprShadowLimitA+0], 8 // extend limit for pre-pad
s_addc_u32 s[sgprShadowLimitA+1], s[sgprShadowLimitA+1], 0 // extend limit for pre-pad
s_cmp_eq_u32 s[sgprShadowLimitA+1], 0              // are we within 2^32?
s_cselect_b32 s[sgprSrdA+2], s[sgprShadowLimitA+0], BufferLimitA // Move shadow to real if we are within 2^32
s_mul_hi_u32 s59, s[sgprStrideAK], s[sgprWorkGroup2] // Stride*WG
s_mul_i32 s58, s[sgprStrideAK], s[sgprWorkGroup2]  // Stride*WG
s_add_u32 s60, s60, s58                            // accum wg term to tilestart
s_addc_u32 s61, s61, s59                           // accum wg term to tilestart
s_lshl_b64 s[60:61], s[60:61], 0x2                 // tileStart *= BPE
s_add_u32 s[sgprSrdA+0], s[sgprSrdA+0], s60        // SRD base = Address+ tileStart0
s_addc_u32 s[sgprSrdA+1], s[sgprSrdA+1], s61       // SRD base = Address+ tileStart1
s_mov_b32 s[sgprSrdA+3], Srd127_96                 // Set bits 127_96 in SRD


/* global read addresses: addresses b */

/* max read offset = size[n] * stride[n-1] */
s_mul_hi_u32 s61, s[sgprWorkGroup1], 24            // WorkGroup[01] * MT
s_mul_i32 s60, s[sgprWorkGroup1], 24               // WorkGroup[01] * MT
s_mul_hi_u32 s61, s60, s[sgprStrideB1J]            // tlu=0, scaled tile-offset by stride
s_mul_i32 s60, s60, s[sgprStrideB1J]               // tlu=0, scaled tile-offset by stride
s_mul_hi_u32 s59, 32, s[sgprGSUSumIdx]             // gsuOffset = DepthU*bpe*GSUSumIdx
s_mul_i32 s58, 32, s[sgprGSUSumIdx]                // gsuOffset = DepthU*bpe*GSUSumIdx
s_add_u32 s60, s60, s58                            // accum GsuOffset term to tilestart
s_addc_u32 s61, s61, s59                           // accum GsuOffset term to tilestart
s_sub_u32 s[sgprShadowLimitB+0], s[sgprTensor2dSizeB], s60 // sub tileStart
s_subb_u32 s[sgprShadowLimitB+1], s[sgprTensor2dSizeB+1], s61 // sub tileStart
s_lshl_b64 s[sgprShadowLimitB:sgprShadowLimitB+1], s[sgprShadowLimitB:sgprShadowLimitB+1], 0x2 // Set limit to use bytes
s_add_u32 s[sgprShadowLimitB+0], s[sgprShadowLimitB+0], 8 // extend limit for pre-pad
s_addc_u32 s[sgprShadowLimitB+1], s[sgprShadowLimitB+1], 0 // extend limit for pre-pad
s_cmp_eq_u32 s[sgprShadowLimitB+1], 0              // are we within 2^32?
s_cselect_b32 s[sgprSrdB+2], s[sgprShadowLimitB+0], BufferLimitB // Move shadow to real if we are within 2^32
s_mul_hi_u32 s59, s[sgprStrideBK], s[sgprWorkGroup2] // Stride*WG
s_mul_i32 s58, s[sgprStrideBK], s[sgprWorkGroup2]  // Stride*WG
s_add_u32 s60, s60, s58                            // accum wg term to tilestart
s_addc_u32 s61, s61, s59                           // accum wg term to tilestart
s_lshl_b64 s[60:61], s[60:61], 0x2                 // tileStart *= BPE
s_add_u32 s[sgprSrdB+0], s[sgprSrdB+0], s60        // SRD base = Address+ tileStart0
s_addc_u32 s[sgprSrdB+1], s[sgprSrdB+1], s61       // SRD base = Address+ tileStart1
s_mov_b32 s[sgprSrdB+3], Srd127_96                 // Set bits 127_96 in SRD


/* global read addresses: increments a */

s_mul_i32 s[sgprGlobalReadIncsA+0], DepthU*BpeA*4, s[sgprStrideAL] // incrA unrollIdx)


/* global read addresses: increments b */

s_mov_b32 s[sgprGlobalReadIncsB+0], DepthU*BpeB*4  // incrB (unrollIdx)

/* declare loop num iterations */


s_lshr_b32 s[sgprLoopCounterL], s[sgprSizesSum+0], 5 // s[sgprLoopCounterL] = s[sgprSizesSum+0] / 32
s_mov_b32 s60, s[sgprLoopCounterL]                 // copy for divide IterGsu
s_lshr_b32 s[sgprLoopCounterL], s60, 2             // s[sgprLoopCounterL] = s60 / 4
s_and_b32 s[sgprGSUSumIdx+1], 3, s60               // s[sgprGSUSumIdx+1] = s60 % 4
s_add_u32 s58, 1, s[sgprLoopCounterL]              // tmp<-numIterMyWg+
s_cmp_lt_u32 s[sgprGSUSumIdx], s[sgprGSUSumIdx+1]  // gsuSumIdx < numIterPerWgRemainder
s_cmov_b32 s[sgprLoopCounterL], s58                // numIterMyWg++ if needed
s_mov_b32 s[sgprOrigLoopCounter], s[sgprLoopCounterL] // copy loop counter

s_and_b32 s[sgprStaggerUIter], s[sgprOrigStaggerUIter], s[sgprWorkGroup0] // Compute actual stagger start for this tile
s_lshl_b32 s[sgprStaggerUIter], s[sgprStaggerUIter], 1 // shift by StaggerUStride


/* SRDs += (StaggerUIter) * GlobalReadIncsA+0 */
s_mul_hi_u32 s59, s[sgprStaggerUIter], s[sgprGlobalReadIncsA+0] //  stagger byte offset
s_mul_i32 s58, s[sgprStaggerUIter], s[sgprGlobalReadIncsA+0] //  stagger byte offset
s_mul_hi_u32 s[sgprWrapUA+1], s[sgprLoopCounterL], s[sgprGlobalReadIncsA+0] // Number of bytes accessed by the unroll loop
s_mul_i32 s[sgprWrapUA+0], s[sgprLoopCounterL], s[sgprGlobalReadIncsA+0] // Number of bytes accessed by the unroll loop
s_sub_u32 s[sgprWrapUA+0], s[sgprGlobalReadIncsA+0], s[sgprWrapUA+0] // remove one iteration
s_subb_u32 s[sgprWrapUA+1], 0, s[sgprWrapUA+1]     // remove one iteration
s_add_u32 s[sgprSrdA+0], s[sgprSrdA+0], s58        // gra SRD += inc(lower)
s_addc_u32  s[sgprSrdA+1], s[sgprSrdA+1], s59      // gra SRD += inc(upper)
s_sub_u32 s[sgprShadowLimitA+0], s[sgprShadowLimitA+0], s58 // limit -= inc)
s_subb_u32 s[sgprShadowLimitA+1], s[sgprShadowLimitA+1], s59 // limit -= inc)
s_cmp_eq_u32 s[sgprShadowLimitA+1], 0              // are we within 2^32?
s_cselect_b32 s[sgprSrdA+2], s[sgprShadowLimitA+0], BufferLimitA // Move shadow to real if we are within 2^32


/* SRDs += (StaggerUIter) * GlobalReadIncsB+0 */
s_mul_hi_u32 s59, s[sgprStaggerUIter], s[sgprGlobalReadIncsB+0] //  stagger byte offset
s_mul_i32 s58, s[sgprStaggerUIter], s[sgprGlobalReadIncsB+0] //  stagger byte offset
s_mul_hi_u32 s[sgprWrapUB+1], s[sgprLoopCounterL], s[sgprGlobalReadIncsB+0] // Number of bytes accessed by the unroll loop
s_mul_i32 s[sgprWrapUB+0], s[sgprLoopCounterL], s[sgprGlobalReadIncsB+0] // Number of bytes accessed by the unroll loop
s_sub_u32 s[sgprWrapUB+0], s[sgprGlobalReadIncsB+0], s[sgprWrapUB+0] // remove one iteration
s_subb_u32 s[sgprWrapUB+1], 0, s[sgprWrapUB+1]     // remove one iteration
s_add_u32 s[sgprSrdB+0], s[sgprSrdB+0], s58        // gra SRD += inc(lower)
s_addc_u32  s[sgprSrdB+1], s[sgprSrdB+1], s59      // gra SRD += inc(upper)
s_sub_u32 s[sgprShadowLimitB+0], s[sgprShadowLimitB+0], s58 // limit -= inc)
s_subb_u32 s[sgprShadowLimitB+1], s[sgprShadowLimitB+1], s59 // limit -= inc)
s_cmp_eq_u32 s[sgprShadowLimitB+1], 0              // are we within 2^32?
s_cselect_b32 s[sgprSrdB+2], s[sgprShadowLimitB+0], BufferLimitB // Move shadow to real if we are within 2^32
s_add_u32 s[sgprStaggerUIter], s[sgprStaggerUIter], 2 // Subtract (PGR-1); StaggerUIter now contains target iteration to wrap

/* local read addresses: init pointers a */


/* localReadInitPointers */

/* local read addresses: init pointers b */


/* localReadInitPointers */


/* prefetch: global -> local */

s_cmp_eq_u32 s[sgprLoopCounterL], 0                // at last iteration?
s_cbranch_scc1 ShadowInitStart_10                  // skip to ShadowInitStart iter b/c numIter==0


_buffer_load_b64 v[vgprG2LA+0:vgprG2LA+0+1], v[vgprGlobalReadOffsetA+0], s[sgprSrdA:sgprSrdA+3], 0, offen offset:0 // G -> Reg 0_0_0_0
_buffer_load_b64 v[vgprG2LA+2:vgprG2LA+2+1], v[vgprGlobalReadOffsetA+1], s[sgprSrdA:sgprSrdA+3], 0, offen offset:0 // G -> Reg 0_0_1_0
_buffer_load_b64 v[vgprG2LA+4:vgprG2LA+4+1], v[vgprGlobalReadOffsetA+2], s[sgprSrdA:sgprSrdA+3], 0, offen offset:0 // G -> Reg 0_0_2_0
_buffer_load_b64 v[vgprG2LA+6:vgprG2LA+6+1], v[vgprGlobalReadOffsetA+3], s[sgprSrdA:sgprSrdA+3], 0, offen offset:0 // G -> Reg 0_0_3_0


_buffer_load_b64 v[vgprG2LB+0:vgprG2LB+0+1], v[vgprGlobalReadOffsetB+0], s[sgprSrdB:sgprSrdB+3], 0, offen offset:0 // G -> Reg 0_0_0_0
_buffer_load_b64 v[vgprG2LB+2:vgprG2LB+2+1], v[vgprGlobalReadOffsetB+1], s[sgprSrdB:sgprSrdB+3], 0, offen offset:0 // G -> Reg 0_0_1_0


/* global read inc A loopL */
s_add_u32 s60, s[sgprLoopCounterL], 1              // remove pf(1)
s_cmp_eq_u32 s[sgprStaggerUIter], s60              // Is this wrapIter? (pf)
s_cselect_b32 s58, s[sgprWrapUA+0], s[sgprGlobalReadIncsA+0] // incLower <- ?
s_cselect_b32 s59, s[sgprWrapUA+1], 0              // incUpper <- ?
s_add_u32 s[sgprSrdA+0], s[sgprSrdA+0], s58        // gra SRD += inc(lower)
s_addc_u32  s[sgprSrdA+1], s[sgprSrdA+1], s59      // gra SRD += inc(upper)
s_sub_u32 s[sgprShadowLimitA+0], s[sgprShadowLimitA+0], s58 // limit -= inc)
s_subb_u32 s[sgprShadowLimitA+1], s[sgprShadowLimitA+1], s59 // limit -= inc)
s_cmp_eq_u32 s[sgprShadowLimitA+1], 0              // are we within 2^32?
s_cselect_b32 s[sgprSrdA+2], s[sgprShadowLimitA+0], BufferLimitA // Move shadow to real if we are within 2^32

/* global read inc B loopL */
s_add_u32 s60, s[sgprLoopCounterL], 1              // remove pf(1)
s_cmp_eq_u32 s[sgprStaggerUIter], s60              // Is this wrapIter? (pf)
s_cselect_b32 s58, s[sgprWrapUB+0], s[sgprGlobalReadIncsB+0] // incLower <- ?
s_cselect_b32 s59, s[sgprWrapUB+1], 0              // incUpper <- ?
s_add_u32 s[sgprSrdB+0], s[sgprSrdB+0], s58        // gra SRD += inc(lower)
s_addc_u32  s[sgprSrdB+1], s[sgprSrdB+1], s59      // gra SRD += inc(upper)
s_sub_u32 s[sgprShadowLimitB+0], s[sgprShadowLimitB+0], s58 // limit -= inc)
s_subb_u32 s[sgprShadowLimitB+1], s[sgprShadowLimitB+1], s59 // limit -= inc)
s_cmp_eq_u32 s[sgprShadowLimitB+1], 0              // are we within 2^32?
s_cselect_b32 s[sgprSrdB+2], s[sgprShadowLimitB+0], BufferLimitB // Move shadow to real if we are within 2^32


/******************************************/
/* End setupNewTile, isPap=False             */
/******************************************/

ShadowInitStart_10: // 

s_mov_b32 s[sgprSrdD+2], BufferOOB                 // 
s_mov_b32 s[sgprSrdD+3], Srd127_96                 // Set bits 127_96 in post-loop SRD

s_mov_b32 s[sgprSrdC+2], BufferOOB                 // 
s_mov_b32 s[sgprSrdC+3], Srd127_96                 // Set bits 127_96 in post-loop SRD


s_mul_i32 s60, MT1, s[sgprWorkGroup1]              // <- wg1*MT1
s_mul_hi_u32 s59, s60, s[sgprStrideC1J]            // CScale s60 by Stride
s_mul_i32 s58, s60, s[sgprStrideC1J]               // CScale s60 by Stride
s_lshl_b64 s[58:59], s[58:59], 2                   // scale by bpe
s_add_u32 s[sgprSrdC+0], s[sgprSrdC+0], s58        // add lo to SRD
s_addc_u32 s[sgprSrdC+1], s[sgprSrdC+1], s59       // add hi to SRD
s_mul_hi_u32 s59, s60, s[sgprStrideD1J]            // Scale s60 by Stride
s_mul_i32 s58, s60, s[sgprStrideD1J]               // Scale s60 by Stride
s_lshl_b64 s[58:59], s[58:59], 2                   // scale by bpe
s_add_u32 s[sgprSrdD+0], s[sgprSrdD+0], s58        // add lo to SRD
s_addc_u32 s[sgprSrdD+1], s[sgprSrdD+1], s59       // add hi to SRD

s_mul_hi_u32 s59, s[sgprWorkGroup2], s[sgprStrideCK] // CScale s[sgprWorkGroup2] by Stride
s_mul_i32 s58, s[sgprWorkGroup2], s[sgprStrideCK]  // CScale s[sgprWorkGroup2] by Stride
s_lshl_b64 s[58:59], s[58:59], 2                   // scale by bpe
s_add_u32 s[sgprSrdC+0], s[sgprSrdC+0], s58        // add lo to SRD
s_addc_u32 s[sgprSrdC+1], s[sgprSrdC+1], s59       // add hi to SRD
s_mul_hi_u32 s59, s[sgprWorkGroup2], s[sgprStrideDK] // Scale s[sgprWorkGroup2] by Stride
s_mul_i32 s58, s[sgprWorkGroup2], s[sgprStrideDK]  // Scale s[sgprWorkGroup2] by Stride
s_lshl_b64 s[58:59], s[58:59], 2                   // scale by bpe
s_add_u32 s[sgprSrdD+0], s[sgprSrdD+0], s58        // add lo to SRD
s_addc_u32 s[sgprSrdD+1], s[sgprSrdD+1], s59       // add hi to SRD


	;; [unrolled: 1-line block ×3, first 2 shown]
/* initC: remove C-tile 0-24 from pool */

/* initC: remove AB-tile 24-44 from pool */
v_mov_b32 v[vgprValuC+0], 0x0                      // initC
v_mov_b32 v[vgprValuC+1], 0x0                      // initC
v_mov_b32 v[vgprValuC+2], 0x0                      // initC
v_mov_b32 v[vgprValuC+3], 0x0                      // initC
v_mov_b32 v[vgprValuC+4], 0x0                      // initC
v_mov_b32 v[vgprValuC+5], 0x0                      // initC
v_mov_b32 v[vgprValuC+6], 0x0                      // initC
v_mov_b32 v[vgprValuC+7], 0x0                      // initC
v_mov_b32 v[vgprValuC+8], 0x0                      // initC
v_mov_b32 v[vgprValuC+9], 0x0                      // initC
v_mov_b32 v[vgprValuC+10], 0x0                     // initC
v_mov_b32 v[vgprValuC+11], 0x0                     // initC
	;; [unrolled: 1-line block ×14, first 2 shown]

s_cmp_eq_u32 s[sgprLoopCounterL], 0                // at last iteration?

/* after InitC, skip to end of prefetch last iter if numIter==0 */
s_cbranch_scc0 label_NoBranch_11                   // Only branch on scc1
s_getpc_B64 s[58:59]                               // addr of next instr
s_add_i32 s60, PrefetchGlobalLastIterEnd_5, 0x4    // target branch offset
s_add_u32 s58, s58, s60                            // add target branch offset
s_addc_u32 s59, s59, 0                             // add high and carry
s_setpc_b64 s[58:59]                               // branch to PrefetchGlobalLastIterEnd_5
label_NoBranch_11:

s_waitcnt vmcnt(0)                                 // lgkmcnt=-1 vmcnt=0 8wait for global read


/* local write a */
_ds_store_b64 v[vgprLocalWriteAddrA], v[vgprG2LA+0:vgprG2LA+0+1] offset:0 // lwoA_0_0_0_0 = (0*LSCA) + (0*LSPA)(*MT0I+PAD) = 0
_ds_store_b64 v[vgprLocalWriteAddrA], v[vgprG2LA+2:vgprG2LA+2+1] offset:1536 // lwoA_0_0_1_0 = (0*LSCA) + (1*LSPA)(*MT0I+PAD) = 1536
_ds_store_b64 v[vgprLocalWriteAddrA], v[vgprG2LA+4:vgprG2LA+4+1] offset:3072 // lwoA_0_0_2_0 = (0*LSCA) + (2*LSPA)(*MT0I+PAD) = 3072
_ds_store_b64 v[vgprLocalWriteAddrA], v[vgprG2LA+6:vgprG2LA+6+1] offset:4608 // lwoA_0_0_3_0 = (0*LSCA) + (3*LSPA)(*MT0I+PAD) = 4608

/* local write b */
_ds_store_b32 v[vgprLocalWriteAddrB], v[vgprG2LB+0] offset:0 // lwoB_0_0_0_0 = (0 + 0*LSCB)*(MT1J+PAD) + (0*LSPB) = 0
_ds_store_b32 v[vgprLocalWriteAddrB], v[vgprG2LB+1] offset:96 // lwoB_0_1_0_0 = (1 + 0*LSCB)*(MT1J+PAD) + (0*LSPB) = 96
_ds_store_b32 v[vgprLocalWriteAddrB], v[vgprG2LB+2] offset:48 // lwoB_0_0_1_0 = (0 + 0*LSCB)*(MT1J+PAD) + (1*LSPB) = 48
_ds_store_b32 v[vgprLocalWriteAddrB], v[vgprG2LB+3] offset:144 // lwoB_0_1_1_0 = (1 + 0*LSCB)*(MT1J+PAD) + (1*LSPB) = 144


/* local write swap a */


/* (EPS=1) local write swap internal offset -> 16384 */


/* local write swap b */


/* (EPS=1) local write swap internal offset -> 16384 */


	;; [unrolled: 1-line block ×3, first 2 shown]
s_waitcnt lgkmcnt(0)                               // lgkmcnt=0 vmcnt=-10prefetch wait for local write

s_barrier //


/* local read prefetch a */

_ds_load_b64 v[vgprValuA_X0_I0+0:vgprValuA_X0_I0+0+1], v[vgprLocalReadAddrA] offset:0 // L -> Reg lro=0 swapByteOffset=0 ti=8 vIdx=0 rIdx=0 oIdx=0 buffer=0 iui=0
_ds_load_b64 v[vgprValuA_X0_I0+2:vgprValuA_X0_I0+2+1], v[vgprLocalReadAddrA] offset:64 // L -> Reg lro=0 swapByteOffset=0 ti=8 vIdx=1 rIdx=0 oIdx=0 buffer=0 iui=0
	;; [unrolled: 1-line block ×3, first 2 shown]


/* local read prefetch b */

_ds_load_b64 v[vgprValuB_X0_I0+0:vgprValuB_X0_I0+0+1], v[vgprLocalReadAddrB] offset:0 // L -> Reg lro=0 swapByteOffset=0 ti=6 vIdx=0 rIdx=0 oIdx=0 buffer=0 iui=0
_ds_load_b64 v[vgprValuB_X0_I0+2:vgprValuB_X0_I0+2+1], v[vgprLocalReadAddrB] offset:48 // L -> Reg lro=0 swapByteOffset=0 ti=6 vIdx=1 rIdx=0 oIdx=0 buffer=0 iui=0


/* local read inc a */

/* N/A, lro->192 */
/* self.localReadDoCntA 0 self.localReadDoCntB 0 */


/* local read inc b */

/* N/A, lro->96 */
/* self.localReadDoCntA 0 self.localReadDoCntB 0 */


	;; [unrolled: 1-line block ×3, first 2 shown]
/******************************************/
/* Unrolled Loop(s) - Begin               */
/******************************************/

openLoopL_12:
s_cmp_le_u32 s[sgprLoopCounterL], 0x1              // LoopCounterL < EndCounter
s_cbranch_scc1 LoopEndL_2                          // do not enter LoopL
LoopBeginL_1:


/******************************************/
/* Unrolled Loop 1/2 - Begin              */
/******************************************/

label_0013: // LoopCopy1 


/* Begin Each Unroll: Check VGPR.checkin for INT8 LW */


	;; [unrolled: 1-line block ×3, first 2 shown]
/* iter 0 */


/* local read a */
_ds_load_b64 v[vgprValuA_X1_I0+0:vgprValuA_X1_I0+0+1], v[vgprLocalReadAddrA] offset:768 // L -> Reg lro=192 swapByteOffset=0 ti=8 vIdx=0 rIdx=0 oIdx=0 buffer=1 iui=0
_ds_load_b64 v[vgprValuA_X1_I0+2:vgprValuA_X1_I0+2+1], v[vgprLocalReadAddrA] offset:832 // L -> Reg lro=192 swapByteOffset=0 ti=8 vIdx=1 rIdx=0 oIdx=0 buffer=1 iui=0
	;; [unrolled: 1-line block ×3, first 2 shown]

/* local read b */
_ds_load_b64 v[vgprValuB_X1_I0+0:vgprValuB_X1_I0+0+1], v[vgprLocalReadAddrB] offset:384 // L -> Reg lro=96 swapByteOffset=0 ti=6 vIdx=0 rIdx=0 oIdx=0 buffer=1 iui=0
_ds_load_b64 v[vgprValuB_X1_I0+2:vgprValuB_X1_I0+2+1], v[vgprLocalReadAddrB] offset:432 // L -> Reg lro=96 swapByteOffset=0 ti=6 vIdx=1 rIdx=0 oIdx=0 buffer=1 iui=0

/* local read increment a */
/* N/A, lro->384 */
/* self.localReadDoCntA 0 self.localReadDoCntB 0 */

/* local read increment b */
/* N/A, lro->192 */
/* self.localReadDoCntA 0 self.localReadDoCntB 0 */
_buffer_load_b64 v[vgprG2LA+0:vgprG2LA+0+1], v[vgprGlobalReadOffsetA+0], s[sgprSrdA:sgprSrdA+3], 0, offen offset:0 // G -> Reg 0_0_0_0
_buffer_load_b64 v[vgprG2LA+2:vgprG2LA+2+1], v[vgprGlobalReadOffsetA+1], s[sgprSrdA:sgprSrdA+3], 0, offen offset:0 // G -> Reg 0_0_1_0
_buffer_load_b64 v[vgprG2LA+4:vgprG2LA+4+1], v[vgprGlobalReadOffsetA+2], s[sgprSrdA:sgprSrdA+3], 0, offen offset:0 // G -> Reg 0_0_2_0
_buffer_load_b64 v[vgprG2LA+6:vgprG2LA+6+1], v[vgprGlobalReadOffsetA+3], s[sgprSrdA:sgprSrdA+3], 0, offen offset:0 // G -> Reg 0_0_3_0
_buffer_load_b64 v[vgprG2LB+0:vgprG2LB+0+1], v[vgprGlobalReadOffsetB+0], s[sgprSrdB:sgprSrdB+3], 0, offen offset:0 // G -> Reg 0_0_0_0
s_waitcnt lgkmcnt(5)                               // lgkmcnt=0 vmcnt=-1wait for prior local read local write old=0, new=5 newLW=0 newLR=0
MAC_6x4_X0

/* iter 1 */


/* local read a */
_ds_load_b64 v[vgprValuA_X0_I0+0:vgprValuA_X0_I0+0+1], v[vgprLocalReadAddrA] offset:1536 // L -> Reg lro=384 swapByteOffset=0 ti=8 vIdx=0 rIdx=0 oIdx=0 buffer=0 iui=0
_ds_load_b64 v[vgprValuA_X0_I0+2:vgprValuA_X0_I0+2+1], v[vgprLocalReadAddrA] offset:1600 // L -> Reg lro=384 swapByteOffset=0 ti=8 vIdx=1 rIdx=0 oIdx=0 buffer=0 iui=0
	;; [unrolled: 1-line block ×3, first 2 shown]

/* local read b */
_ds_load_b64 v[vgprValuB_X0_I0+0:vgprValuB_X0_I0+0+1], v[vgprLocalReadAddrB] offset:768 // L -> Reg lro=192 swapByteOffset=0 ti=6 vIdx=0 rIdx=0 oIdx=0 buffer=0 iui=0
_ds_load_b64 v[vgprValuB_X0_I0+2:vgprValuB_X0_I0+2+1], v[vgprLocalReadAddrB] offset:816 // L -> Reg lro=192 swapByteOffset=0 ti=6 vIdx=1 rIdx=0 oIdx=0 buffer=0 iui=0

/* local read increment a */
/* N/A, lro->576 */
/* self.localReadDoCntA 0 self.localReadDoCntB 0 */

/* local read increment b */
/* N/A, lro->288 */
/* self.localReadDoCntA 0 self.localReadDoCntB 0 */
_buffer_load_b64 v[vgprG2LB+2:vgprG2LB+2+1], v[vgprGlobalReadOffsetB+1], s[sgprSrdB:sgprSrdB+3], 0, offen offset:0 // G -> Reg 0_0_1_0
s_waitcnt lgkmcnt(5)                               // lgkmcnt=0 vmcnt=-1wait for prior local read local write old=0, new=5 newLW=0 newLR=0
MAC_6x4_X1

/* iter 2 */


/* local read a */
_ds_load_b64 v[vgprValuA_X1_I0+0:vgprValuA_X1_I0+0+1], v[vgprLocalReadAddrA] offset:2304 // L -> Reg lro=576 swapByteOffset=0 ti=8 vIdx=0 rIdx=0 oIdx=0 buffer=1 iui=0
_ds_load_b64 v[vgprValuA_X1_I0+2:vgprValuA_X1_I0+2+1], v[vgprLocalReadAddrA] offset:2368 // L -> Reg lro=576 swapByteOffset=0 ti=8 vIdx=1 rIdx=0 oIdx=0 buffer=1 iui=0
	;; [unrolled: 1-line block ×3, first 2 shown]

/* local read b */
_ds_load_b64 v[vgprValuB_X1_I0+0:vgprValuB_X1_I0+0+1], v[vgprLocalReadAddrB] offset:1152 // L -> Reg lro=288 swapByteOffset=0 ti=6 vIdx=0 rIdx=0 oIdx=0 buffer=1 iui=0
_ds_load_b64 v[vgprValuB_X1_I0+2:vgprValuB_X1_I0+2+1], v[vgprLocalReadAddrB] offset:1200 // L -> Reg lro=288 swapByteOffset=0 ti=6 vIdx=1 rIdx=0 oIdx=0 buffer=1 iui=0

/* local read increment a */
/* N/A, lro->768 */
/* self.localReadDoCntA 0 self.localReadDoCntB 0 */

/* local read increment b */
/* N/A, lro->384 */
/* self.localReadDoCntA 0 self.localReadDoCntB 0 */

/* global read inc A loopL */
s_cmp_eq_u32 s[sgprLoopCounterL], s[sgprStaggerUIter] // Is this the wrapIter?
s_cselect_b32 s58, s[sgprWrapUA+0], s[sgprGlobalReadIncsA+0] // incLower <- ?
s_cselect_b32 s59, s[sgprWrapUA+1], 0              // incUpper <- ?
s_add_u32 s[sgprSrdA+0], s[sgprSrdA+0], s58        // gra SRD += inc(lower)
s_addc_u32  s[sgprSrdA+1], s[sgprSrdA+1], s59      // gra SRD += inc(upper)
s_sub_u32 s[sgprShadowLimitA+0], s[sgprShadowLimitA+0], s58 // limit -= inc)
s_subb_u32 s[sgprShadowLimitA+1], s[sgprShadowLimitA+1], s59 // limit -= inc)
s_cmp_eq_u32 s[sgprShadowLimitA+1], 0              // are we within 2^32?
s_cselect_b32 s[sgprSrdA+2], s[sgprShadowLimitA+0], BufferLimitA // Move shadow to real if we are within 2^32
s_waitcnt lgkmcnt(5)                               // lgkmcnt=0 vmcnt=-1wait for prior local read local write old=0, new=5 newLW=0 newLR=0
MAC_6x4_X0

/* iter 3 */


/* local read a */
_ds_load_b64 v[vgprValuA_X0_I0+0:vgprValuA_X0_I0+0+1], v[vgprLocalReadAddrA] offset:3072 // L -> Reg lro=768 swapByteOffset=0 ti=8 vIdx=0 rIdx=0 oIdx=0 buffer=0 iui=0
_ds_load_b64 v[vgprValuA_X0_I0+2:vgprValuA_X0_I0+2+1], v[vgprLocalReadAddrA] offset:3136 // L -> Reg lro=768 swapByteOffset=0 ti=8 vIdx=1 rIdx=0 oIdx=0 buffer=0 iui=0
	;; [unrolled: 1-line block ×3, first 2 shown]

/* local read b */
_ds_load_b64 v[vgprValuB_X0_I0+0:vgprValuB_X0_I0+0+1], v[vgprLocalReadAddrB] offset:1536 // L -> Reg lro=384 swapByteOffset=0 ti=6 vIdx=0 rIdx=0 oIdx=0 buffer=0 iui=0
_ds_load_b64 v[vgprValuB_X0_I0+2:vgprValuB_X0_I0+2+1], v[vgprLocalReadAddrB] offset:1584 // L -> Reg lro=384 swapByteOffset=0 ti=6 vIdx=1 rIdx=0 oIdx=0 buffer=0 iui=0

/* local read increment a */
/* N/A, lro->960 */
/* self.localReadDoCntA 0 self.localReadDoCntB 0 */

/* local read increment b */
/* N/A, lro->480 */
/* self.localReadDoCntA 0 self.localReadDoCntB 0 */

/* global read inc B loopL */
s_cmp_eq_u32 s[sgprLoopCounterL], s[sgprStaggerUIter] // Is this the wrapIter?
s_cselect_b32 s58, s[sgprWrapUB+0], s[sgprGlobalReadIncsB+0] // incLower <- ?
s_cselect_b32 s59, s[sgprWrapUB+1], 0              // incUpper <- ?
s_add_u32 s[sgprSrdB+0], s[sgprSrdB+0], s58        // gra SRD += inc(lower)
s_addc_u32  s[sgprSrdB+1], s[sgprSrdB+1], s59      // gra SRD += inc(upper)
s_sub_u32 s[sgprShadowLimitB+0], s[sgprShadowLimitB+0], s58 // limit -= inc)
s_subb_u32 s[sgprShadowLimitB+1], s[sgprShadowLimitB+1], s59 // limit -= inc)
s_cmp_eq_u32 s[sgprShadowLimitB+1], 0              // are we within 2^32?
s_cselect_b32 s[sgprSrdB+2], s[sgprShadowLimitB+0], BufferLimitB // Move shadow to real if we are within 2^32
/* sched write - iter 3 writesPerItem=1 */
s_waitcnt vmcnt(0)                                 // lgkmcnt=-1 vmcnt=0wait for global read before writing to local
_ds_store_b64 v[vgprLocalWriteAddrA], v[vgprG2LA+0:vgprG2LA+0+1] offset:16384 // lwoA_0_0_0_0 = (0*LSCA) + (0*LSPA)(*MT0I+PAD) = 16384
s_waitcnt lgkmcnt(6)                               // lgkmcnt=0 vmcnt=-1wait for prior local read local write old=0, new=6 newLW=0 newLR=0
MAC_6x4_X1

/* iter 4 */


/* local read a */
_ds_load_b64 v[vgprValuA_X1_I0+0:vgprValuA_X1_I0+0+1], v[vgprLocalReadAddrA] offset:3840 // L -> Reg lro=960 swapByteOffset=0 ti=8 vIdx=0 rIdx=0 oIdx=0 buffer=1 iui=0
_ds_load_b64 v[vgprValuA_X1_I0+2:vgprValuA_X1_I0+2+1], v[vgprLocalReadAddrA] offset:3904 // L -> Reg lro=960 swapByteOffset=0 ti=8 vIdx=1 rIdx=0 oIdx=0 buffer=1 iui=0
	;; [unrolled: 1-line block ×3, first 2 shown]

/* local read b */
_ds_load_b64 v[vgprValuB_X1_I0+0:vgprValuB_X1_I0+0+1], v[vgprLocalReadAddrB] offset:1920 // L -> Reg lro=480 swapByteOffset=0 ti=6 vIdx=0 rIdx=0 oIdx=0 buffer=1 iui=0
_ds_load_b64 v[vgprValuB_X1_I0+2:vgprValuB_X1_I0+2+1], v[vgprLocalReadAddrB] offset:1968 // L -> Reg lro=480 swapByteOffset=0 ti=6 vIdx=1 rIdx=0 oIdx=0 buffer=1 iui=0

/* local read increment a */
/* N/A, lro->1152 */
/* self.localReadDoCntA 0 self.localReadDoCntB 0 */

/* local read increment b */
/* N/A, lro->576 */
/* self.localReadDoCntA 0 self.localReadDoCntB 0 */
/* sched write - iter 4 writesPerItem=1 */
s_waitcnt vmcnt(0)                                 // lgkmcnt=-1 vmcnt=0wait for global read before writing to local
_ds_store_b64 v[vgprLocalWriteAddrA], v[vgprG2LA+2:vgprG2LA+2+1] offset:17920 // lwoA_0_0_1_0 = (0*LSCA) + (1*LSPA)(*MT0I+PAD) = 17920
s_waitcnt lgkmcnt(6)                               // lgkmcnt=0 vmcnt=-1wait for prior local read local write old=0, new=6 newLW=0 newLR=0
MAC_6x4_X0

/* iter 5 */


/* local read a */
_ds_load_b64 v[vgprValuA_X0_I0+0:vgprValuA_X0_I0+0+1], v[vgprLocalReadAddrA] offset:4608 // L -> Reg lro=1152 swapByteOffset=0 ti=8 vIdx=0 rIdx=0 oIdx=0 buffer=0 iui=0
_ds_load_b64 v[vgprValuA_X0_I0+2:vgprValuA_X0_I0+2+1], v[vgprLocalReadAddrA] offset:4672 // L -> Reg lro=1152 swapByteOffset=0 ti=8 vIdx=1 rIdx=0 oIdx=0 buffer=0 iui=0
	;; [unrolled: 1-line block ×3, first 2 shown]

/* local read b */
_ds_load_b64 v[vgprValuB_X0_I0+0:vgprValuB_X0_I0+0+1], v[vgprLocalReadAddrB] offset:2304 // L -> Reg lro=576 swapByteOffset=0 ti=6 vIdx=0 rIdx=0 oIdx=0 buffer=0 iui=0
_ds_load_b64 v[vgprValuB_X0_I0+2:vgprValuB_X0_I0+2+1], v[vgprLocalReadAddrB] offset:2352 // L -> Reg lro=576 swapByteOffset=0 ti=6 vIdx=1 rIdx=0 oIdx=0 buffer=0 iui=0

/* local read increment a */
/* N/A, lro->1344 */
/* self.localReadDoCntA 0 self.localReadDoCntB 0 */

/* local read increment b */
/* N/A, lro->672 */
/* self.localReadDoCntA 0 self.localReadDoCntB 0 */
/* sched write - iter 5 writesPerItem=1 */
s_waitcnt vmcnt(0)                                 // lgkmcnt=-1 vmcnt=0wait for global read before writing to local
_ds_store_b64 v[vgprLocalWriteAddrA], v[vgprG2LA+4:vgprG2LA+4+1] offset:19456 // lwoA_0_0_2_0 = (0*LSCA) + (2*LSPA)(*MT0I+PAD) = 19456
s_waitcnt lgkmcnt(6)                               // lgkmcnt=0 vmcnt=-1wait for prior local read local write old=0, new=6 newLW=0 newLR=0
MAC_6x4_X1

/* iter 6 (reset local read pointers iteration)  (swap and reset local write pointers iteration)  (swap local read pointers iteration)  */


/* local read a */
_ds_load_b64 v[vgprValuA_X1_I0+0:vgprValuA_X1_I0+0+1], v[vgprLocalReadAddrA] offset:5376 // L -> Reg lro=1344 swapByteOffset=0 ti=8 vIdx=0 rIdx=0 oIdx=0 buffer=1 iui=0
_ds_load_b64 v[vgprValuA_X1_I0+2:vgprValuA_X1_I0+2+1], v[vgprLocalReadAddrA] offset:5440 // L -> Reg lro=1344 swapByteOffset=0 ti=8 vIdx=1 rIdx=0 oIdx=0 buffer=1 iui=0
_ds_load_b64 v[vgprValuA_X1_I0+4:vgprValuA_X1_I0+4+1], v[vgprLocalReadAddrA] offset:5504 // L -> Reg lro=1344 swapByteOffset=0 ti=8 vIdx=2 rIdx=0 oIdx=0 buffer=1 iui=0

/* local read b */
_ds_load_b64 v[vgprValuB_X1_I0+0:vgprValuB_X1_I0+0+1], v[vgprLocalReadAddrB] offset:2688 // L -> Reg lro=672 swapByteOffset=0 ti=6 vIdx=0 rIdx=0 oIdx=0 buffer=1 iui=0
_ds_load_b64 v[vgprValuB_X1_I0+2:vgprValuB_X1_I0+2+1], v[vgprLocalReadAddrB] offset:2736 // L -> Reg lro=672 swapByteOffset=0 ti=6 vIdx=1 rIdx=0 oIdx=0 buffer=1 iui=0
/* sched write - iter 6 writesPerItem=1 */
s_waitcnt vmcnt(0)                                 // lgkmcnt=-1 vmcnt=0wait for global read before writing to local
_ds_store_b64 v[vgprLocalWriteAddrA], v[vgprG2LA+6:vgprG2LA+6+1] offset:20992 // lwoA_0_0_3_0 = (0*LSCA) + (3*LSPA)(*MT0I+PAD) = 20992
/* sched write - iter 6 writesPerItem=2 */
s_waitcnt vmcnt(0)                                 // lgkmcnt=-1 vmcnt=0wait for global read before writing to local
_ds_store_b32 v[vgprLocalWriteAddrB], v[vgprG2LB+0] offset:16384 // lwoB_0_0_0_0 = (0 + 0*LSCB)*(MT1J+PAD) + (0*LSPB) = 16384
_ds_store_b32 v[vgprLocalWriteAddrB], v[vgprG2LB+1] offset:16480 // lwoB_0_1_0_0 = (1 + 0*LSCB)*(MT1J+PAD) + (0*LSPB) = 16480
/* sched write - iter 6 writesPerItem=2 */
s_waitcnt vmcnt(0)                                 // lgkmcnt=-1 vmcnt=0wait for global read before writing to local
_ds_store_b32 v[vgprLocalWriteAddrB], v[vgprG2LB+2] offset:16432 // lwoB_0_0_1_0 = (0 + 0*LSCB)*(MT1J+PAD) + (1*LSPB) = 16432
_ds_store_b32 v[vgprLocalWriteAddrB], v[vgprG2LB+3] offset:16528 // lwoB_0_1_1_0 = (1 + 0*LSCB)*(MT1J+PAD) + (1*LSPB) = 16528

/* local write swap offsets a */

/* (EPS=1) local write swap internal offset -> 0 */

/* local write swap offsets b */

/* (EPS=1) local write swap internal offset -> 0 */

/* local read swap offsets a */

/* local read swap internal offset -> 16384 */

/* local read swap offsets b */

/* local read swap internal offset -> 16384 */

/* local read init pointers a */

/* localReadInitPointers */

/* local read init pointers b */

/* localReadInitPointers */
s_waitcnt lgkmcnt(10)                              // lgkmcnt=0 vmcnt=-1wait for prior local read local write old=0, new=10 newLW=0 newLR=0
MAC_6x4_X0

/* iter 7 */

s_waitcnt lgkmcnt(0)                               // lgkmcnt=0 vmcnt=-13wait for local write
s_barrier //

/* local read a */
_ds_load_b64 v[vgprValuA_X0_I0+0:vgprValuA_X0_I0+0+1], v[vgprLocalReadAddrA] offset:16384 // L -> Reg lro=0 swapByteOffset=16384 ti=8 vIdx=0 rIdx=0 oIdx=0 buffer=0 iui=0
_ds_load_b64 v[vgprValuA_X0_I0+2:vgprValuA_X0_I0+2+1], v[vgprLocalReadAddrA] offset:16448 // L -> Reg lro=0 swapByteOffset=16384 ti=8 vIdx=1 rIdx=0 oIdx=0 buffer=0 iui=0
	;; [unrolled: 1-line block ×3, first 2 shown]

/* local read b */
_ds_load_b64 v[vgprValuB_X0_I0+0:vgprValuB_X0_I0+0+1], v[vgprLocalReadAddrB] offset:16384 // L -> Reg lro=0 swapByteOffset=16384 ti=6 vIdx=0 rIdx=0 oIdx=0 buffer=0 iui=0
_ds_load_b64 v[vgprValuB_X0_I0+2:vgprValuB_X0_I0+2+1], v[vgprLocalReadAddrB] offset:16432 // L -> Reg lro=0 swapByteOffset=16384 ti=6 vIdx=1 rIdx=0 oIdx=0 buffer=0 iui=0

/* local read increment a */
/* N/A, lro->192 */
/* self.localReadDoCntA 0 self.localReadDoCntB 0 */

/* local read increment b */
/* N/A, lro->96 */
/* self.localReadDoCntA 0 self.localReadDoCntB 0 */
s_waitcnt lgkmcnt(5)                               // lgkmcnt=0 vmcnt=-1wait for prior local read local write old=0, new=5 newLW=0 newLR=0
MAC_6x4_X1

/******************************************/
/* Unrolled Loop - End 1/2                */
/******************************************/


/* closeLoop loopL finalLoop=0 tailLoop=0 */
s_sub_u32 s[sgprLoopCounterL], s[sgprLoopCounterL], 1 // dec counterL
s_cmp_eq_i32 s[sgprLoopCounterL], 0x1              // counterL==1
s_cbranch_scc1 LoopEndL_oddexit_3                  // exit LoopL


/******************************************/
/* Unrolled Loop 2/2 - Begin              */
/******************************************/

label_0014: // LoopCopy2 


/* Begin Each Unroll: Check VGPR.checkin for INT8 LW */


	;; [unrolled: 1-line block ×3, first 2 shown]
/* iter 0 */


/* local read a */
_ds_load_b64 v[vgprValuA_X1_I0+0:vgprValuA_X1_I0+0+1], v[vgprLocalReadAddrA] offset:17152 // L -> Reg lro=192 swapByteOffset=16384 ti=8 vIdx=0 rIdx=0 oIdx=0 buffer=1 iui=0
_ds_load_b64 v[vgprValuA_X1_I0+2:vgprValuA_X1_I0+2+1], v[vgprLocalReadAddrA] offset:17216 // L -> Reg lro=192 swapByteOffset=16384 ti=8 vIdx=1 rIdx=0 oIdx=0 buffer=1 iui=0
	;; [unrolled: 1-line block ×3, first 2 shown]

/* local read b */
_ds_load_b64 v[vgprValuB_X1_I0+0:vgprValuB_X1_I0+0+1], v[vgprLocalReadAddrB] offset:16768 // L -> Reg lro=96 swapByteOffset=16384 ti=6 vIdx=0 rIdx=0 oIdx=0 buffer=1 iui=0
_ds_load_b64 v[vgprValuB_X1_I0+2:vgprValuB_X1_I0+2+1], v[vgprLocalReadAddrB] offset:16816 // L -> Reg lro=96 swapByteOffset=16384 ti=6 vIdx=1 rIdx=0 oIdx=0 buffer=1 iui=0

/* local read increment a */
/* N/A, lro->384 */
/* self.localReadDoCntA 0 self.localReadDoCntB 0 */

/* local read increment b */
/* N/A, lro->192 */
/* self.localReadDoCntA 0 self.localReadDoCntB 0 */
_buffer_load_b64 v[vgprG2LA+0:vgprG2LA+0+1], v[vgprGlobalReadOffsetA+0], s[sgprSrdA:sgprSrdA+3], 0, offen offset:0 // G -> Reg 0_0_0_0
_buffer_load_b64 v[vgprG2LA+2:vgprG2LA+2+1], v[vgprGlobalReadOffsetA+1], s[sgprSrdA:sgprSrdA+3], 0, offen offset:0 // G -> Reg 0_0_1_0
_buffer_load_b64 v[vgprG2LA+4:vgprG2LA+4+1], v[vgprGlobalReadOffsetA+2], s[sgprSrdA:sgprSrdA+3], 0, offen offset:0 // G -> Reg 0_0_2_0
_buffer_load_b64 v[vgprG2LA+6:vgprG2LA+6+1], v[vgprGlobalReadOffsetA+3], s[sgprSrdA:sgprSrdA+3], 0, offen offset:0 // G -> Reg 0_0_3_0
_buffer_load_b64 v[vgprG2LB+0:vgprG2LB+0+1], v[vgprGlobalReadOffsetB+0], s[sgprSrdB:sgprSrdB+3], 0, offen offset:0 // G -> Reg 0_0_0_0
s_waitcnt lgkmcnt(5)                               // lgkmcnt=0 vmcnt=-1wait for prior local read local write old=0, new=5 newLW=0 newLR=0
MAC_6x4_X0

/* iter 1 */


/* local read a */
_ds_load_b64 v[vgprValuA_X0_I0+0:vgprValuA_X0_I0+0+1], v[vgprLocalReadAddrA] offset:17920 // L -> Reg lro=384 swapByteOffset=16384 ti=8 vIdx=0 rIdx=0 oIdx=0 buffer=0 iui=0
_ds_load_b64 v[vgprValuA_X0_I0+2:vgprValuA_X0_I0+2+1], v[vgprLocalReadAddrA] offset:17984 // L -> Reg lro=384 swapByteOffset=16384 ti=8 vIdx=1 rIdx=0 oIdx=0 buffer=0 iui=0
	;; [unrolled: 1-line block ×3, first 2 shown]

/* local read b */
_ds_load_b64 v[vgprValuB_X0_I0+0:vgprValuB_X0_I0+0+1], v[vgprLocalReadAddrB] offset:17152 // L -> Reg lro=192 swapByteOffset=16384 ti=6 vIdx=0 rIdx=0 oIdx=0 buffer=0 iui=0
_ds_load_b64 v[vgprValuB_X0_I0+2:vgprValuB_X0_I0+2+1], v[vgprLocalReadAddrB] offset:17200 // L -> Reg lro=192 swapByteOffset=16384 ti=6 vIdx=1 rIdx=0 oIdx=0 buffer=0 iui=0

/* local read increment a */
/* N/A, lro->576 */
/* self.localReadDoCntA 0 self.localReadDoCntB 0 */

/* local read increment b */
/* N/A, lro->288 */
/* self.localReadDoCntA 0 self.localReadDoCntB 0 */
_buffer_load_b64 v[vgprG2LB+2:vgprG2LB+2+1], v[vgprGlobalReadOffsetB+1], s[sgprSrdB:sgprSrdB+3], 0, offen offset:0 // G -> Reg 0_0_1_0
s_waitcnt lgkmcnt(5)                               // lgkmcnt=0 vmcnt=-1wait for prior local read local write old=0, new=5 newLW=0 newLR=0
MAC_6x4_X1

/* iter 2 */


/* local read a */
_ds_load_b64 v[vgprValuA_X1_I0+0:vgprValuA_X1_I0+0+1], v[vgprLocalReadAddrA] offset:18688 // L -> Reg lro=576 swapByteOffset=16384 ti=8 vIdx=0 rIdx=0 oIdx=0 buffer=1 iui=0
_ds_load_b64 v[vgprValuA_X1_I0+2:vgprValuA_X1_I0+2+1], v[vgprLocalReadAddrA] offset:18752 // L -> Reg lro=576 swapByteOffset=16384 ti=8 vIdx=1 rIdx=0 oIdx=0 buffer=1 iui=0
	;; [unrolled: 1-line block ×3, first 2 shown]

/* local read b */
_ds_load_b64 v[vgprValuB_X1_I0+0:vgprValuB_X1_I0+0+1], v[vgprLocalReadAddrB] offset:17536 // L -> Reg lro=288 swapByteOffset=16384 ti=6 vIdx=0 rIdx=0 oIdx=0 buffer=1 iui=0
_ds_load_b64 v[vgprValuB_X1_I0+2:vgprValuB_X1_I0+2+1], v[vgprLocalReadAddrB] offset:17584 // L -> Reg lro=288 swapByteOffset=16384 ti=6 vIdx=1 rIdx=0 oIdx=0 buffer=1 iui=0

/* local read increment a */
/* N/A, lro->768 */
/* self.localReadDoCntA 0 self.localReadDoCntB 0 */

/* local read increment b */
/* N/A, lro->384 */
/* self.localReadDoCntA 0 self.localReadDoCntB 0 */

/* global read inc A loopL */
s_cmp_eq_u32 s[sgprLoopCounterL], s[sgprStaggerUIter] // Is this the wrapIter?
s_cselect_b32 s58, s[sgprWrapUA+0], s[sgprGlobalReadIncsA+0] // incLower <- ?
s_cselect_b32 s59, s[sgprWrapUA+1], 0              // incUpper <- ?
s_add_u32 s[sgprSrdA+0], s[sgprSrdA+0], s58        // gra SRD += inc(lower)
s_addc_u32  s[sgprSrdA+1], s[sgprSrdA+1], s59      // gra SRD += inc(upper)
s_sub_u32 s[sgprShadowLimitA+0], s[sgprShadowLimitA+0], s58 // limit -= inc)
s_subb_u32 s[sgprShadowLimitA+1], s[sgprShadowLimitA+1], s59 // limit -= inc)
s_cmp_eq_u32 s[sgprShadowLimitA+1], 0              // are we within 2^32?
s_cselect_b32 s[sgprSrdA+2], s[sgprShadowLimitA+0], BufferLimitA // Move shadow to real if we are within 2^32
s_waitcnt lgkmcnt(5)                               // lgkmcnt=0 vmcnt=-1wait for prior local read local write old=0, new=5 newLW=0 newLR=0
MAC_6x4_X0

/* iter 3 */


/* local read a */
_ds_load_b64 v[vgprValuA_X0_I0+0:vgprValuA_X0_I0+0+1], v[vgprLocalReadAddrA] offset:19456 // L -> Reg lro=768 swapByteOffset=16384 ti=8 vIdx=0 rIdx=0 oIdx=0 buffer=0 iui=0
_ds_load_b64 v[vgprValuA_X0_I0+2:vgprValuA_X0_I0+2+1], v[vgprLocalReadAddrA] offset:19520 // L -> Reg lro=768 swapByteOffset=16384 ti=8 vIdx=1 rIdx=0 oIdx=0 buffer=0 iui=0
	;; [unrolled: 1-line block ×3, first 2 shown]

/* local read b */
_ds_load_b64 v[vgprValuB_X0_I0+0:vgprValuB_X0_I0+0+1], v[vgprLocalReadAddrB] offset:17920 // L -> Reg lro=384 swapByteOffset=16384 ti=6 vIdx=0 rIdx=0 oIdx=0 buffer=0 iui=0
_ds_load_b64 v[vgprValuB_X0_I0+2:vgprValuB_X0_I0+2+1], v[vgprLocalReadAddrB] offset:17968 // L -> Reg lro=384 swapByteOffset=16384 ti=6 vIdx=1 rIdx=0 oIdx=0 buffer=0 iui=0

/* local read increment a */
/* N/A, lro->960 */
/* self.localReadDoCntA 0 self.localReadDoCntB 0 */

/* local read increment b */
/* N/A, lro->480 */
/* self.localReadDoCntA 0 self.localReadDoCntB 0 */

/* global read inc B loopL */
s_cmp_eq_u32 s[sgprLoopCounterL], s[sgprStaggerUIter] // Is this the wrapIter?
s_cselect_b32 s58, s[sgprWrapUB+0], s[sgprGlobalReadIncsB+0] // incLower <- ?
s_cselect_b32 s59, s[sgprWrapUB+1], 0              // incUpper <- ?
s_add_u32 s[sgprSrdB+0], s[sgprSrdB+0], s58        // gra SRD += inc(lower)
s_addc_u32  s[sgprSrdB+1], s[sgprSrdB+1], s59      // gra SRD += inc(upper)
s_sub_u32 s[sgprShadowLimitB+0], s[sgprShadowLimitB+0], s58 // limit -= inc)
s_subb_u32 s[sgprShadowLimitB+1], s[sgprShadowLimitB+1], s59 // limit -= inc)
s_cmp_eq_u32 s[sgprShadowLimitB+1], 0              // are we within 2^32?
s_cselect_b32 s[sgprSrdB+2], s[sgprShadowLimitB+0], BufferLimitB // Move shadow to real if we are within 2^32
/* sched write - iter 3 writesPerItem=1 */
s_waitcnt vmcnt(0)                                 // lgkmcnt=-1 vmcnt=0wait for global read before writing to local
_ds_store_b64 v[vgprLocalWriteAddrA], v[vgprG2LA+0:vgprG2LA+0+1] offset:0 // lwoA_0_0_0_0 = (0*LSCA) + (0*LSPA)(*MT0I+PAD) = 0
s_waitcnt lgkmcnt(6)                               // lgkmcnt=0 vmcnt=-1wait for prior local read local write old=0, new=6 newLW=0 newLR=0
MAC_6x4_X1

/* iter 4 */


/* local read a */
_ds_load_b64 v[vgprValuA_X1_I0+0:vgprValuA_X1_I0+0+1], v[vgprLocalReadAddrA] offset:20224 // L -> Reg lro=960 swapByteOffset=16384 ti=8 vIdx=0 rIdx=0 oIdx=0 buffer=1 iui=0
_ds_load_b64 v[vgprValuA_X1_I0+2:vgprValuA_X1_I0+2+1], v[vgprLocalReadAddrA] offset:20288 // L -> Reg lro=960 swapByteOffset=16384 ti=8 vIdx=1 rIdx=0 oIdx=0 buffer=1 iui=0
	;; [unrolled: 1-line block ×3, first 2 shown]

/* local read b */
_ds_load_b64 v[vgprValuB_X1_I0+0:vgprValuB_X1_I0+0+1], v[vgprLocalReadAddrB] offset:18304 // L -> Reg lro=480 swapByteOffset=16384 ti=6 vIdx=0 rIdx=0 oIdx=0 buffer=1 iui=0
_ds_load_b64 v[vgprValuB_X1_I0+2:vgprValuB_X1_I0+2+1], v[vgprLocalReadAddrB] offset:18352 // L -> Reg lro=480 swapByteOffset=16384 ti=6 vIdx=1 rIdx=0 oIdx=0 buffer=1 iui=0

/* local read increment a */
/* N/A, lro->1152 */
/* self.localReadDoCntA 0 self.localReadDoCntB 0 */

/* local read increment b */
/* N/A, lro->576 */
/* self.localReadDoCntA 0 self.localReadDoCntB 0 */
/* sched write - iter 4 writesPerItem=1 */
s_waitcnt vmcnt(0)                                 // lgkmcnt=-1 vmcnt=0wait for global read before writing to local
_ds_store_b64 v[vgprLocalWriteAddrA], v[vgprG2LA+2:vgprG2LA+2+1] offset:1536 // lwoA_0_0_1_0 = (0*LSCA) + (1*LSPA)(*MT0I+PAD) = 1536
s_waitcnt lgkmcnt(6)                               // lgkmcnt=0 vmcnt=-1wait for prior local read local write old=0, new=6 newLW=0 newLR=0
MAC_6x4_X0

/* iter 5 */


/* local read a */
_ds_load_b64 v[vgprValuA_X0_I0+0:vgprValuA_X0_I0+0+1], v[vgprLocalReadAddrA] offset:20992 // L -> Reg lro=1152 swapByteOffset=16384 ti=8 vIdx=0 rIdx=0 oIdx=0 buffer=0 iui=0
_ds_load_b64 v[vgprValuA_X0_I0+2:vgprValuA_X0_I0+2+1], v[vgprLocalReadAddrA] offset:21056 // L -> Reg lro=1152 swapByteOffset=16384 ti=8 vIdx=1 rIdx=0 oIdx=0 buffer=0 iui=0
	;; [unrolled: 1-line block ×3, first 2 shown]

/* local read b */
_ds_load_b64 v[vgprValuB_X0_I0+0:vgprValuB_X0_I0+0+1], v[vgprLocalReadAddrB] offset:18688 // L -> Reg lro=576 swapByteOffset=16384 ti=6 vIdx=0 rIdx=0 oIdx=0 buffer=0 iui=0
_ds_load_b64 v[vgprValuB_X0_I0+2:vgprValuB_X0_I0+2+1], v[vgprLocalReadAddrB] offset:18736 // L -> Reg lro=576 swapByteOffset=16384 ti=6 vIdx=1 rIdx=0 oIdx=0 buffer=0 iui=0

/* local read increment a */
/* N/A, lro->1344 */
/* self.localReadDoCntA 0 self.localReadDoCntB 0 */

/* local read increment b */
/* N/A, lro->672 */
/* self.localReadDoCntA 0 self.localReadDoCntB 0 */
/* sched write - iter 5 writesPerItem=1 */
s_waitcnt vmcnt(0)                                 // lgkmcnt=-1 vmcnt=0wait for global read before writing to local
_ds_store_b64 v[vgprLocalWriteAddrA], v[vgprG2LA+4:vgprG2LA+4+1] offset:3072 // lwoA_0_0_2_0 = (0*LSCA) + (2*LSPA)(*MT0I+PAD) = 3072
s_waitcnt lgkmcnt(6)                               // lgkmcnt=0 vmcnt=-1wait for prior local read local write old=0, new=6 newLW=0 newLR=0
MAC_6x4_X1

/* iter 6 (reset local read pointers iteration)  (swap and reset local write pointers iteration)  (swap local read pointers iteration)  */


/* local read a */
_ds_load_b64 v[vgprValuA_X1_I0+0:vgprValuA_X1_I0+0+1], v[vgprLocalReadAddrA] offset:21760 // L -> Reg lro=1344 swapByteOffset=16384 ti=8 vIdx=0 rIdx=0 oIdx=0 buffer=1 iui=0
_ds_load_b64 v[vgprValuA_X1_I0+2:vgprValuA_X1_I0+2+1], v[vgprLocalReadAddrA] offset:21824 // L -> Reg lro=1344 swapByteOffset=16384 ti=8 vIdx=1 rIdx=0 oIdx=0 buffer=1 iui=0
	;; [unrolled: 1-line block ×3, first 2 shown]

/* local read b */
_ds_load_b64 v[vgprValuB_X1_I0+0:vgprValuB_X1_I0+0+1], v[vgprLocalReadAddrB] offset:19072 // L -> Reg lro=672 swapByteOffset=16384 ti=6 vIdx=0 rIdx=0 oIdx=0 buffer=1 iui=0
_ds_load_b64 v[vgprValuB_X1_I0+2:vgprValuB_X1_I0+2+1], v[vgprLocalReadAddrB] offset:19120 // L -> Reg lro=672 swapByteOffset=16384 ti=6 vIdx=1 rIdx=0 oIdx=0 buffer=1 iui=0
/* sched write - iter 6 writesPerItem=1 */
s_waitcnt vmcnt(0)                                 // lgkmcnt=-1 vmcnt=0wait for global read before writing to local
_ds_store_b64 v[vgprLocalWriteAddrA], v[vgprG2LA+6:vgprG2LA+6+1] offset:4608 // lwoA_0_0_3_0 = (0*LSCA) + (3*LSPA)(*MT0I+PAD) = 4608
/* sched write - iter 6 writesPerItem=2 */
s_waitcnt vmcnt(0)                                 // lgkmcnt=-1 vmcnt=0wait for global read before writing to local
_ds_store_b32 v[vgprLocalWriteAddrB], v[vgprG2LB+0] offset:0 // lwoB_0_0_0_0 = (0 + 0*LSCB)*(MT1J+PAD) + (0*LSPB) = 0
_ds_store_b32 v[vgprLocalWriteAddrB], v[vgprG2LB+1] offset:96 // lwoB_0_1_0_0 = (1 + 0*LSCB)*(MT1J+PAD) + (0*LSPB) = 96
/* sched write - iter 6 writesPerItem=2 */
s_waitcnt vmcnt(0)                                 // lgkmcnt=-1 vmcnt=0wait for global read before writing to local
_ds_store_b32 v[vgprLocalWriteAddrB], v[vgprG2LB+2] offset:48 // lwoB_0_0_1_0 = (0 + 0*LSCB)*(MT1J+PAD) + (1*LSPB) = 48
_ds_store_b32 v[vgprLocalWriteAddrB], v[vgprG2LB+3] offset:144 // lwoB_0_1_1_0 = (1 + 0*LSCB)*(MT1J+PAD) + (1*LSPB) = 144

/* local write swap offsets a */

/* (EPS=1) local write swap internal offset -> 16384 */

/* local write swap offsets b */

/* (EPS=1) local write swap internal offset -> 16384 */

/* local read swap offsets a */

/* local read swap internal offset -> 0 */

/* local read swap offsets b */

/* local read swap internal offset -> 0 */

/* local read init pointers a */

/* localReadInitPointers */

/* local read init pointers b */

/* localReadInitPointers */
s_waitcnt lgkmcnt(10)                              // lgkmcnt=0 vmcnt=-1wait for prior local read local write old=0, new=10 newLW=0 newLR=0
MAC_6x4_X0

/* iter 7 */

s_waitcnt lgkmcnt(0)                               // lgkmcnt=0 vmcnt=-13wait for local write
s_barrier //

/* local read a */
_ds_load_b64 v[vgprValuA_X0_I0+0:vgprValuA_X0_I0+0+1], v[vgprLocalReadAddrA] offset:0 // L -> Reg lro=0 swapByteOffset=0 ti=8 vIdx=0 rIdx=0 oIdx=0 buffer=0 iui=0
_ds_load_b64 v[vgprValuA_X0_I0+2:vgprValuA_X0_I0+2+1], v[vgprLocalReadAddrA] offset:64 // L -> Reg lro=0 swapByteOffset=0 ti=8 vIdx=1 rIdx=0 oIdx=0 buffer=0 iui=0
	;; [unrolled: 1-line block ×3, first 2 shown]

/* local read b */
_ds_load_b64 v[vgprValuB_X0_I0+0:vgprValuB_X0_I0+0+1], v[vgprLocalReadAddrB] offset:0 // L -> Reg lro=0 swapByteOffset=0 ti=6 vIdx=0 rIdx=0 oIdx=0 buffer=0 iui=0
_ds_load_b64 v[vgprValuB_X0_I0+2:vgprValuB_X0_I0+2+1], v[vgprLocalReadAddrB] offset:48 // L -> Reg lro=0 swapByteOffset=0 ti=6 vIdx=1 rIdx=0 oIdx=0 buffer=0 iui=0

/* local read increment a */
/* N/A, lro->192 */
/* self.localReadDoCntA 0 self.localReadDoCntB 0 */

/* local read increment b */
/* N/A, lro->96 */
/* self.localReadDoCntA 0 self.localReadDoCntB 0 */
s_waitcnt lgkmcnt(5)                               // lgkmcnt=0 vmcnt=-1wait for prior local read local write old=0, new=5 newLW=0 newLR=0
MAC_6x4_X1

/******************************************/
/* Unrolled Loop - End 2/2 (final)        */
/******************************************/


/* closeLoop loopL finalLoop=1 tailLoop=0 */
s_sub_u32 s[sgprLoopCounterL], s[sgprLoopCounterL], 1 // dec counterL
s_cmp_eq_i32 s[sgprLoopCounterL], 0x1              // counterL==1
s_cbranch_scc0 LoopBeginL_1                        // restart LoopL
LoopEndL_evenexit_4: // unroll loop eveniter exit
s_branch LoopEndL_2                                // exit unroll loopL (and skip second exit code)
LoopEndL_oddexit_3: // unroll loop odditer exit

/* Select high bank of LDS */
v_xor_b32 v[vgprLocalReadAddrA], 0x4000, v[vgprLocalReadAddrA] // swap Red Blk
v_xor_b32 v[vgprLocalReadAddrB], 0x4000, v[vgprLocalReadAddrB] // swap Red Blk
LoopEndL_2:


/* Before NLL: Check VGPR.checkin for INT8 LW */


/******************************************/
/* Ord. NoLoadLoop - Begin                                      */
/******************************************/


	;; [unrolled: 1-line block ×4, first 2 shown]
/* iter 0 (last unrolled loop) */


/* local read a */
_ds_load_b64 v[vgprValuA_X1_I0+0:vgprValuA_X1_I0+0+1], v[vgprLocalReadAddrA] offset:768 // L -> Reg lro=192 swapByteOffset=0 ti=8 vIdx=0 rIdx=0 oIdx=0 buffer=1 iui=0
_ds_load_b64 v[vgprValuA_X1_I0+2:vgprValuA_X1_I0+2+1], v[vgprLocalReadAddrA] offset:832 // L -> Reg lro=192 swapByteOffset=0 ti=8 vIdx=1 rIdx=0 oIdx=0 buffer=1 iui=0
_ds_load_b64 v[vgprValuA_X1_I0+4:vgprValuA_X1_I0+4+1], v[vgprLocalReadAddrA] offset:896 // L -> Reg lro=192 swapByteOffset=0 ti=8 vIdx=2 rIdx=0 oIdx=0 buffer=1 iui=0

/* local read b */
_ds_load_b64 v[vgprValuB_X1_I0+0:vgprValuB_X1_I0+0+1], v[vgprLocalReadAddrB] offset:384 // L -> Reg lro=96 swapByteOffset=0 ti=6 vIdx=0 rIdx=0 oIdx=0 buffer=1 iui=0
_ds_load_b64 v[vgprValuB_X1_I0+2:vgprValuB_X1_I0+2+1], v[vgprLocalReadAddrB] offset:432 // L -> Reg lro=96 swapByteOffset=0 ti=6 vIdx=1 rIdx=0 oIdx=0 buffer=1 iui=0

/* local read increment a */
/* N/A, lro->384 */
/* self.localReadDoCntA 0 self.localReadDoCntB 0 */

/* local read increment b */
/* N/A, lro->192 */
/* self.localReadDoCntA 0 self.localReadDoCntB 0 */
s_waitcnt lgkmcnt(5)                               // lgkmcnt=0 vmcnt=-1wait for prior local read local write old=0, new=5 newLW=0 newLR=0
MAC_6x4_X0

/* iter 1 (last unrolled loop) */


/* local read a */
_ds_load_b64 v[vgprValuA_X0_I0+0:vgprValuA_X0_I0+0+1], v[vgprLocalReadAddrA] offset:1536 // L -> Reg lro=384 swapByteOffset=0 ti=8 vIdx=0 rIdx=0 oIdx=0 buffer=0 iui=0
_ds_load_b64 v[vgprValuA_X0_I0+2:vgprValuA_X0_I0+2+1], v[vgprLocalReadAddrA] offset:1600 // L -> Reg lro=384 swapByteOffset=0 ti=8 vIdx=1 rIdx=0 oIdx=0 buffer=0 iui=0
_ds_load_b64 v[vgprValuA_X0_I0+4:vgprValuA_X0_I0+4+1], v[vgprLocalReadAddrA] offset:1664 // L -> Reg lro=384 swapByteOffset=0 ti=8 vIdx=2 rIdx=0 oIdx=0 buffer=0 iui=0

/* local read b */
_ds_load_b64 v[vgprValuB_X0_I0+0:vgprValuB_X0_I0+0+1], v[vgprLocalReadAddrB] offset:768 // L -> Reg lro=192 swapByteOffset=0 ti=6 vIdx=0 rIdx=0 oIdx=0 buffer=0 iui=0
_ds_load_b64 v[vgprValuB_X0_I0+2:vgprValuB_X0_I0+2+1], v[vgprLocalReadAddrB] offset:816 // L -> Reg lro=192 swapByteOffset=0 ti=6 vIdx=1 rIdx=0 oIdx=0 buffer=0 iui=0

/* local read increment a */
/* N/A, lro->576 */
/* self.localReadDoCntA 0 self.localReadDoCntB 0 */

/* local read increment b */
/* N/A, lro->288 */
/* self.localReadDoCntA 0 self.localReadDoCntB 0 */
s_waitcnt lgkmcnt(5)                               // lgkmcnt=0 vmcnt=-1wait for prior local read local write old=0, new=5 newLW=0 newLR=0
MAC_6x4_X1

/* iter 2 (last unrolled loop) */


/* local read a */
_ds_load_b64 v[vgprValuA_X1_I0+0:vgprValuA_X1_I0+0+1], v[vgprLocalReadAddrA] offset:2304 // L -> Reg lro=576 swapByteOffset=0 ti=8 vIdx=0 rIdx=0 oIdx=0 buffer=1 iui=0
_ds_load_b64 v[vgprValuA_X1_I0+2:vgprValuA_X1_I0+2+1], v[vgprLocalReadAddrA] offset:2368 // L -> Reg lro=576 swapByteOffset=0 ti=8 vIdx=1 rIdx=0 oIdx=0 buffer=1 iui=0
_ds_load_b64 v[vgprValuA_X1_I0+4:vgprValuA_X1_I0+4+1], v[vgprLocalReadAddrA] offset:2432 // L -> Reg lro=576 swapByteOffset=0 ti=8 vIdx=2 rIdx=0 oIdx=0 buffer=1 iui=0

/* local read b */
_ds_load_b64 v[vgprValuB_X1_I0+0:vgprValuB_X1_I0+0+1], v[vgprLocalReadAddrB] offset:1152 // L -> Reg lro=288 swapByteOffset=0 ti=6 vIdx=0 rIdx=0 oIdx=0 buffer=1 iui=0
_ds_load_b64 v[vgprValuB_X1_I0+2:vgprValuB_X1_I0+2+1], v[vgprLocalReadAddrB] offset:1200 // L -> Reg lro=288 swapByteOffset=0 ti=6 vIdx=1 rIdx=0 oIdx=0 buffer=1 iui=0

/* local read increment a */
/* N/A, lro->768 */
/* self.localReadDoCntA 0 self.localReadDoCntB 0 */

/* local read increment b */
/* N/A, lro->384 */
/* self.localReadDoCntA 0 self.localReadDoCntB 0 */
s_waitcnt lgkmcnt(5)                               // lgkmcnt=0 vmcnt=-1wait for prior local read local write old=0, new=5 newLW=0 newLR=0
MAC_6x4_X0

/* iter 3 (last unrolled loop) */


/* local read a */
_ds_load_b64 v[vgprValuA_X0_I0+0:vgprValuA_X0_I0+0+1], v[vgprLocalReadAddrA] offset:3072 // L -> Reg lro=768 swapByteOffset=0 ti=8 vIdx=0 rIdx=0 oIdx=0 buffer=0 iui=0
_ds_load_b64 v[vgprValuA_X0_I0+2:vgprValuA_X0_I0+2+1], v[vgprLocalReadAddrA] offset:3136 // L -> Reg lro=768 swapByteOffset=0 ti=8 vIdx=1 rIdx=0 oIdx=0 buffer=0 iui=0
_ds_load_b64 v[vgprValuA_X0_I0+4:vgprValuA_X0_I0+4+1], v[vgprLocalReadAddrA] offset:3200 // L -> Reg lro=768 swapByteOffset=0 ti=8 vIdx=2 rIdx=0 oIdx=0 buffer=0 iui=0

/* local read b */
_ds_load_b64 v[vgprValuB_X0_I0+0:vgprValuB_X0_I0+0+1], v[vgprLocalReadAddrB] offset:1536 // L -> Reg lro=384 swapByteOffset=0 ti=6 vIdx=0 rIdx=0 oIdx=0 buffer=0 iui=0
_ds_load_b64 v[vgprValuB_X0_I0+2:vgprValuB_X0_I0+2+1], v[vgprLocalReadAddrB] offset:1584 // L -> Reg lro=384 swapByteOffset=0 ti=6 vIdx=1 rIdx=0 oIdx=0 buffer=0 iui=0

/* local read increment a */
/* N/A, lro->960 */
/* self.localReadDoCntA 0 self.localReadDoCntB 0 */

/* local read increment b */
/* N/A, lro->480 */
/* self.localReadDoCntA 0 self.localReadDoCntB 0 */
s_waitcnt lgkmcnt(5)                               // lgkmcnt=0 vmcnt=-1wait for prior local read local write old=0, new=5 newLW=0 newLR=0
MAC_6x4_X1

	;; [unrolled: 44-line block ×3, first 2 shown]
/* iter 6 (last unrolled loop) */


/* local read a */
_ds_load_b64 v[vgprValuA_X1_I0+0:vgprValuA_X1_I0+0+1], v[vgprLocalReadAddrA] offset:5376 // L -> Reg lro=1344 swapByteOffset=0 ti=8 vIdx=0 rIdx=0 oIdx=0 buffer=1 iui=0
_ds_load_b64 v[vgprValuA_X1_I0+2:vgprValuA_X1_I0+2+1], v[vgprLocalReadAddrA] offset:5440 // L -> Reg lro=1344 swapByteOffset=0 ti=8 vIdx=1 rIdx=0 oIdx=0 buffer=1 iui=0
	;; [unrolled: 1-line block ×3, first 2 shown]

/* local read b */
_ds_load_b64 v[vgprValuB_X1_I0+0:vgprValuB_X1_I0+0+1], v[vgprLocalReadAddrB] offset:2688 // L -> Reg lro=672 swapByteOffset=0 ti=6 vIdx=0 rIdx=0 oIdx=0 buffer=1 iui=0
_ds_load_b64 v[vgprValuB_X1_I0+2:vgprValuB_X1_I0+2+1], v[vgprLocalReadAddrB] offset:2736 // L -> Reg lro=672 swapByteOffset=0 ti=6 vIdx=1 rIdx=0 oIdx=0 buffer=1 iui=0
s_waitcnt lgkmcnt(5)                               // lgkmcnt=0 vmcnt=-1wait for prior local read local write old=0, new=5 newLW=0 newLR=0
MAC_6x4_X0

/* iter 7 (last unrolled loop) */

s_waitcnt lgkmcnt(0)                               // lgkmcnt=0 vmcnt=-1wait for prior local read local write old=0, new=0 newLW=0 newLR=0
MAC_6x4_X1
PrefetchGlobalLastIterEnd_5:


/******************************************/
/* Tail Loop                              */
/******************************************/


/* local write reset offsets a */


v_and_b32 v[vgprLocalWriteAddrA], 0xf03fff, v[vgprLocalWriteAddrA] // reset to Red


/* local write reset offsets b */


v_and_b32 v[vgprLocalWriteAddrB], 0xf03fff, v[vgprLocalWriteAddrB] // reset to Red


//numIterL = (((sizeL % LOCAL_DEPTHU) + LOCAL_SPLITU - 1) / LOCAL_SPLITU)
s_and_b32 s[sgprLoopCounterL], 31, s[sgprSizesSum+0] // s[sgprLoopCounterL] = s[sgprSizesSum+0] % 32
s_add_u32 s[sgprLoopCounterL], 0x3, s[sgprLoopCounterL] // (size % DepthU) + LSU - 1
s_lshr_b32 s[sgprLoopCounterL], s[sgprLoopCounterL], 2 // s[sgprLoopCounterL] = s[sgprLoopCounterL] / 4
s_cmp_lg_u32 s[sgprGSUSumIdx], s[sgprGSUSumIdx+1]  // gsuSumIdx == numIterPerWgRemainder
s_cmov_b32 s[sgprLoopCounterL], 0x0                // numIter=0 if gsuSumIdx!=remainder
s_cmp_eq_u32 s[sgprLoopCounterL], 0x0              // numIterL == 0
s_cbranch_scc1 SkipTailLoopL_8                     // skip to end of tail loop b/c numIter==0
s_mov_b32 s[sgprOrigLoopCounter], 0                // repurpose to count each localRead increment


/* remove stagger offsets for tail loop */

s_mov_b32 s60, 3                                   // 
s_mul_hi_u32 s59, s60, s[sgprGlobalReadIncsA+0]    // 3 * GlobalReadIncs
s_mul_i32 s58, s60, s[sgprGlobalReadIncsA+0]       // 3 * GlobalReadIncs
s_mul_hi_u32 s61, s[sgprStaggerUIter], s[sgprGlobalReadIncsA+0] // StaggerUIter * GlobalReadIncs
s_mul_i32 s60, s[sgprStaggerUIter], s[sgprGlobalReadIncsA+0] // StaggerUIter * GlobalReadIncs
s_sub_u32 s58, s58, s60                            // start offset S in bytes
s_subb_u32 s59, s59, s61                           // start offset S in bytes
s_sub_u32 s58, s58, s[sgprWrapUA]                  // S - WrapU
s_subb_u32 s59, s59, s[sgprWrapUA+1]               // S - WrapU
s_add_u32 s[sgprSrdA+0], s[sgprSrdA+0], s58        // gra SRD += inc(lower)
s_addc_u32  s[sgprSrdA+1], s[sgprSrdA+1], s59      // gra SRD += inc(upper)
s_sub_u32 s[sgprShadowLimitA+0], s[sgprShadowLimitA+0], s58 // limit -= inc)
s_subb_u32 s[sgprShadowLimitA+1], s[sgprShadowLimitA+1], s59 // limit -= inc)
s_cmp_eq_u32 s[sgprShadowLimitA+1], 0              // are we within 2^32?
s_cselect_b32 s[sgprSrdA+2], s[sgprShadowLimitA+0], BufferLimitA // Move shadow to real if we are within 2^32

s_mov_b32 s60, 3                                   // 
s_mul_hi_u32 s59, s60, s[sgprGlobalReadIncsB+0]    // 3 * GlobalReadIncs
s_mul_i32 s58, s60, s[sgprGlobalReadIncsB+0]       // 3 * GlobalReadIncs
s_mul_hi_u32 s61, s[sgprStaggerUIter], s[sgprGlobalReadIncsB+0] // StaggerUIter * GlobalReadIncs
s_mul_i32 s60, s[sgprStaggerUIter], s[sgprGlobalReadIncsB+0] // StaggerUIter * GlobalReadIncs
s_sub_u32 s58, s58, s60                            // start offset S in bytes
s_subb_u32 s59, s59, s61                           // start offset S in bytes
s_sub_u32 s58, s58, s[sgprWrapUB]                  // S - WrapU
s_subb_u32 s59, s59, s[sgprWrapUB+1]               // S - WrapU
s_add_u32 s[sgprSrdB+0], s[sgprSrdB+0], s58        // gra SRD += inc(lower)
s_addc_u32  s[sgprSrdB+1], s[sgprSrdB+1], s59      // gra SRD += inc(upper)
s_sub_u32 s[sgprShadowLimitB+0], s[sgprShadowLimitB+0], s58 // limit -= inc)
s_subb_u32 s[sgprShadowLimitB+1], s[sgprShadowLimitB+1], s59 // limit -= inc)
s_cmp_eq_u32 s[sgprShadowLimitB+1], 0              // are we within 2^32?
s_cselect_b32 s[sgprSrdB+2], s[sgprShadowLimitB+0], BufferLimitB // Move shadow to real if we are within 2^32


/* Update M0 for DTLDS */


	;; [unrolled: 1-line block ×3, first 2 shown]
/* global read a */

/* g2l=0, load component 0 */
_buffer_load_b32 v[vgprG2LA+0+0], v[vgprGlobalReadOffsetA+0], s[sgprSrdA:sgprSrdA+3], 0, offen offset:0 // load one buffer value
/* g2l=0, load component 1 */
_buffer_load_b32 v[vgprG2LA+0+1], v[vgprGlobalReadOffsetA+0], s[sgprSrdA:sgprSrdA+3], 0, offen offset:4 // load one buffer value
	;; [unrolled: 2-line block ×8, first 2 shown]


/* Update M0 for DTLDS */


	;; [unrolled: 1-line block ×3, first 2 shown]
/* global read b */

/* g2l=0, load component 0 */
_buffer_load_b32 v[vgprG2LB+0+0], v[vgprGlobalReadOffsetB+0], s[sgprSrdB:sgprSrdB+3], 0, offen offset:0 // load one buffer value
/* g2l=0, load component 1 */
_buffer_load_b32 v[vgprG2LB+0+1], v[vgprGlobalReadOffsetB+0], s[sgprSrdB:sgprSrdB+3], 0, offen offset:4 // load one buffer value
	;; [unrolled: 2-line block ×4, first 2 shown]

s_waitcnt vmcnt(0)                                 // lgkmcnt=-1 vmcnt=02wait for global read

s_barrier //


/* Done global A/B reads */


	;; [unrolled: 1-line block ×4, first 2 shown]
/* local write a */

_ds_store_b64 v[vgprLocalWriteAddrA], v[vgprG2LA+0:vgprG2LA+0+1] offset:0 // lwoA_0_0_0_0 = (0*LSCA) + (0*LSPA)(*MT0I+PAD) = 0
_ds_store_b64 v[vgprLocalWriteAddrA], v[vgprG2LA+2:vgprG2LA+2+1] offset:1536 // lwoA_0_0_1_0 = (0*LSCA) + (1*LSPA)(*MT0I+PAD) = 1536
_ds_store_b64 v[vgprLocalWriteAddrA], v[vgprG2LA+4:vgprG2LA+4+1] offset:3072 // lwoA_0_0_2_0 = (0*LSCA) + (2*LSPA)(*MT0I+PAD) = 3072
_ds_store_b64 v[vgprLocalWriteAddrA], v[vgprG2LA+6:vgprG2LA+6+1] offset:4608 // lwoA_0_0_3_0 = (0*LSCA) + (3*LSPA)(*MT0I+PAD) = 4608


/* local write b */

_ds_store_b32 v[vgprLocalWriteAddrB], v[vgprG2LB+0] offset:0 // lwoB_0_0_0_0 = (0 + 0*LSCB)*(MT1J+PAD) + (0*LSPB) = 0
_ds_store_b32 v[vgprLocalWriteAddrB], v[vgprG2LB+1] offset:96 // lwoB_0_1_0_0 = (1 + 0*LSCB)*(MT1J+PAD) + (0*LSPB) = 96
_ds_store_b32 v[vgprLocalWriteAddrB], v[vgprG2LB+2] offset:48 // lwoB_0_0_1_0 = (0 + 0*LSCB)*(MT1J+PAD) + (1*LSPB) = 48
_ds_store_b32 v[vgprLocalWriteAddrB], v[vgprG2LB+3] offset:144 // lwoB_0_1_1_0 = (1 + 0*LSCB)*(MT1J+PAD) + (1*LSPB) = 144


/* Recalc local read offsets */


s_waitcnt lgkmcnt(0)                               // lgkmcnt=0 vmcnt=-15wait for local write

s_barrier //


/* local read reset offsets a */


/* localReadResetOffsets */
/* handled internally */
v_and_b32 v[vgprLocalReadAddrA], 0x3fff, v[vgprLocalReadAddrA] // reset Red,Blk -> Red


/* local read reset offsets b */


/* localReadResetOffsets */
/* handled internally */
v_and_b32 v[vgprLocalReadAddrB], 0x3fff, v[vgprLocalReadAddrB] // reset Red,Blk -> Red


/* local read init pointers a */


/* localReadInitPointers */


/* local read init pointers b */


/* localReadInitPointers */


/* tail loop: macs */


/* apply exec mask for LSU */
s_mov_b32 s10, 0xaaaaaab                           // v68 = v[vgprSerial] / 48
v_mul_hi_u32 v68, v[vgprSerial], s10               // v68 = v[vgprSerial] / 48
v_lshrrev_b32 v68, 0x1, v68                        // v68 = v[vgprSerial] / 48
v_mov_b32 v67, s[sgprSizesSum+0]                   // sizeU to vgpr
v_and_b32 v69, 31, v67                             // v69 = v67 % 32
TailLoopBeginL_6:
_v_cmpx_lt_u32 vcc, v68, v69                       // sgId < numIter
_v_add_co_u32 v68, vcc, 0x4, v68                   // sgId+=LSU


/* local read a */

_ds_load_b64 v[vgprValuA_X0_I0+0:vgprValuA_X0_I0+0+1], v[vgprLocalReadAddrA] offset:0 // L -> Reg lro=0 swapByteOffset=0 ti=8 vIdx=0 rIdx=0 oIdx=0 buffer=0 iui=0
_ds_load_b64 v[vgprValuA_X0_I0+2:vgprValuA_X0_I0+2+1], v[vgprLocalReadAddrA] offset:64 // L -> Reg lro=0 swapByteOffset=0 ti=8 vIdx=1 rIdx=0 oIdx=0 buffer=0 iui=0
	;; [unrolled: 1-line block ×3, first 2 shown]


/* local read b */

_ds_load_b64 v[vgprValuB_X0_I0+0:vgprValuB_X0_I0+0+1], v[vgprLocalReadAddrB] offset:0 // L -> Reg lro=0 swapByteOffset=0 ti=6 vIdx=0 rIdx=0 oIdx=0 buffer=0 iui=0
_ds_load_b64 v[vgprValuB_X0_I0+2:vgprValuB_X0_I0+2+1], v[vgprLocalReadAddrB] offset:48 // L -> Reg lro=0 swapByteOffset=0 ti=6 vIdx=1 rIdx=0 oIdx=0 buffer=0 iui=0


/* local read inc a */

s_mov_b32 s10, 0x300                               // inc
_v_add_co_u32 v[vgprLocalReadAddrA], vcc, s10, v[vgprLocalReadAddrA] // lrA += 768 (LSU*(MT+PAD)*bpe)


/* local read inc b */

s_mov_b32 s10, 0x180                               // inc
_v_add_co_u32 v[vgprLocalReadAddrB], vcc, s10, v[vgprLocalReadAddrB] // lrB += 384 (LSU*(MT+PAD)*bpe)

s_waitcnt lgkmcnt(0)                               // lgkmcnt=0 vmcnt=-14wait for local read

MAC_6x4_X0

/* closeLoop loopL finalLoop=1 tailLoop=1 */
s_sub_i32 s[sgprLoopCounterL], s[sgprLoopCounterL], 0x1 // dec counterL (tailLoop)
s_add_u32 s[sgprOrigLoopCounter], s[sgprOrigLoopCounter], 0x1 // inc counterL
s_cmp_le_i32 s[sgprLoopCounterL], 0x0              // counterL<=0
s_cbranch_scc0 TailLoopBeginL_6                    // restart LoopL
TailLoopEndL_7:

/* restore full exec mask */
s_mov_b64 s[10:11], 0xFFFFFFFFFFFFFFFF             // restore all threads active
s_or_saveexec_b64 s[10:11], s[10:11]               // full mask -> exec

SkipTailLoopL_8:

Summation_End_17:
/* endSummation: add vgpr [24...64) to pool */


/* shift vector components d0 */

v_mov_b32 v25, s[sgprWorkGroup0]                   // 
v_mul_i32_i24 v25, -0x30, v25                      // wg*MT
_v_add_co_u32 v25, vcc, s[sgprSizesFree+0], v25    // wgMT = Size - wg*MT
v_mov_b32 v24, 0x30                                // MT
v_min_u32 v25, v24, v25                            // wgMT = (wgMT < MT) ? wgMT : MT
v_lshrrev_b32 v24, 1, v25                          // v24 = v25 / 2
v_and_b32 v26, 1, v25                              // v26 = v25 % 2
v_and_b32 v27, 7, v24                              // v27 = v24 % 8
v_and_b32 v28, 7, v[vgprSerial]                    // v28 = v[vgprSerial] % 8
v_lshrrev_b32 v29, 4, v25                          // v29 = v25 / 16
v_and_b32 v30, 1, v25                              // v30 = v25 % 2
v_mov_b32 v31, v30                                 // duplicate
v_lshrrev_b32 v30, 1, v31                          // v30 = v31 / 2
_v_add_co_u32 v30, vcc, v29, v30                   // vId = 2 components
v_cmp_eq_u32 vcc, v26, 0x1                         // wgMT%VW == 1
s_cbranch_vccnz label_0018                         // shift d0 r=1
s_branch label_0022                                // no shifting

/******************************************/
/* shift d0 r=1                           */
/******************************************/
label_0018:
v_cmp_eq_u32 vcc, v30, 0x0                         // wgMT/(SG*VW) == 0
s_cbranch_vccnz label_0019                         // shift d0, r=1, v=0
v_cmp_eq_u32 vcc, v30, 0x1                         // wgMT/(SG*VW) == 1
s_cbranch_vccnz label_0020                         // shift d0, r=1, v=1
v_cmp_eq_u32 vcc, v30, 0x2                         // wgMT/(SG*VW) == 2
s_cbranch_vccnz label_0021                         // shift d0, r=1, v=2

/* shift d0 r=1 v=0 */
label_0019:
_v_cmpx_eq_u32 s[10:11], v28, v27                  // serial % SG == (wgMT/VECTOR_WIDTH)%SG
// src=1, dst=0
v_mov_b32 v0, v1                                   // rC[0+0*VW+0*TT0I] = rC[1+0*VW+0*TT0I]
// src=7, dst=6
v_mov_b32 v6, v7                                   // rC[0+0*VW+1*TT0I] = rC[1+0*VW+1*TT0I]
// src=13, dst=12
v_mov_b32 v12, v13                                 // rC[0+0*VW+2*TT0I] = rC[1+0*VW+2*TT0I]
// src=19, dst=18
v_mov_b32 v18, v19                                 // rC[0+0*VW+3*TT0I] = rC[1+0*VW+3*TT0I]
s_mov_b64 s[10:11], 0xFFFFFFFFFFFFFFFF             // to restore all threads active
s_or_saveexec_b64 vcc, s[10:11]                    // all threads active
s_branch label_0022                                // done shifting

/* shift d0 r=1 v=1 */
label_0020:
_v_cmpx_eq_u32 s[10:11], v28, v27                  // serial % SG == (wgMT/VECTOR_WIDTH)%SG
// src=3, dst=2
v_mov_b32 v2, v3                                   // rC[0+1*VW+0*TT0I] = rC[1+1*VW+0*TT0I]
// src=9, dst=8
v_mov_b32 v8, v9                                   // rC[0+1*VW+1*TT0I] = rC[1+1*VW+1*TT0I]
// src=15, dst=14
v_mov_b32 v14, v15                                 // rC[0+1*VW+2*TT0I] = rC[1+1*VW+2*TT0I]
// src=21, dst=20
v_mov_b32 v20, v21                                 // rC[0+1*VW+3*TT0I] = rC[1+1*VW+3*TT0I]
s_mov_b64 s[10:11], 0xFFFFFFFFFFFFFFFF             // to restore all threads active
s_or_saveexec_b64 vcc, s[10:11]                    // all threads active
s_branch label_0022                                // done shifting

/* shift d0 r=1 v=2 */
label_0021:
_v_cmpx_eq_u32 s[10:11], v28, v27                  // serial % SG == (wgMT/VECTOR_WIDTH)%SG
// src=5, dst=4
v_mov_b32 v4, v5                                   // rC[0+2*VW+0*TT0I] = rC[1+2*VW+0*TT0I]
// src=11, dst=10
v_mov_b32 v10, v11                                 // rC[0+2*VW+1*TT0I] = rC[1+2*VW+1*TT0I]
// src=17, dst=16
v_mov_b32 v16, v17                                 // rC[0+2*VW+2*TT0I] = rC[1+2*VW+2*TT0I]
	;; [unrolled: 2-line block ×3, first 2 shown]
s_mov_b64 s[10:11], 0xFFFFFFFFFFFFFFFF             // to restore all threads active
s_or_saveexec_b64 vcc, s[10:11]                    // all threads active
s_branch label_0022                                // done shifting
label_0022: // end shift0


	;; [unrolled: 1-line block ×3, first 2 shown]
/******************************************/
/* LocalSplitU Reduction                  */
/******************************************/

s_barrier //


/* LocalSplitU: local write */

v_lshrrev_b32 v27, 3, v[vgprSerial]                // v27 = v[vgprSerial] / 8
v_and_b32 v24, 7, v[vgprSerial]                    // v24 = v[vgprSerial] % 8
s_mov_b32 s10, 0x55555556                          // v26 = v27 / 6
v_mul_hi_u32 v26, v27, s10                         // v26 = v27 / 6
v_lshrrev_b32 v26, 0x1, v26                        // v26 = v27 / 6
s_mov_b32 s10, 0x6                                 // v25 = v27 % 6
v_mul_lo_u32 v25, v26, s10                         // v25 = v27 % 6
_v_sub_u32 v25, v27, v25                           // v25 = v27 % 6
s_mov_b32 s10, 0x8                                 // VW
v_mul_lo_u32 v24, s10, v24                         // lr0 *= VW
s_mov_b32 s10, 0x180                               // VW*MT0
v_mul_lo_u32 v25, s10, v25                         // lr1 *= VW*MT0
s_mov_b32 s10, 0x1200                              // MT0*MT1
v_mul_lo_u32 v26, s10, v26                         // sg *= MT0*MT1
_v_add_co_u32 v24, vcc, v25, v24                   // 
_v_add_co_u32 v24, vcc, v26, v24                   // threadOffset
_ds_store_b64 v24, v[vgprValuC+0:vgprValuC+0+1], offset:0 // j=0 i=0 s=0 vc=0
_ds_store_b64 v24, v[vgprValuC+6:vgprValuC+6+1], offset:192 // j=0 i=0 s=1 vc=0
	;; [unrolled: 1-line block ×12, first 2 shown]
s_waitcnt lgkmcnt(0)                               // wait for all writes
s_barrier //post-lsu local write


/* LocalSplitU: local read */

v_lshlrev_b32 v24, 0x3, v[vgprSerial]              // v24 = v[vgprSerial] * 8
_ds_load_b64 v[vgprValuC+0:vgprValuC+0+1], v24, offset:0 // r=0 i=0 s=0
_ds_load_b64 v[vgprValuC+2:vgprValuC+2+1], v24, offset:1536 // r=0 i=1 s=0
_ds_load_b64 v[vgprValuC+4:vgprValuC+4+1], v24, offset:3072 // r=0 i=2 s=0
_ds_load_b64 v[vgprValuC+6:vgprValuC+6+1], v24, offset:4608 // r=1 i=0 s=0
_ds_load_b64 v[vgprValuC+8:vgprValuC+8+1], v24, offset:6144 // r=1 i=1 s=0
_ds_load_b64 v[vgprValuC+10:vgprValuC+10+1], v24, offset:7680 // r=1 i=2 s=0
_ds_load_b64 v[vgprValuC+12:vgprValuC+12+1], v24, offset:9216 // r=2 i=0 s=0
_ds_load_b64 v[vgprValuC+14:vgprValuC+14+1], v24, offset:10752 // r=2 i=1 s=0
_ds_load_b64 v[vgprValuC+16:vgprValuC+16+1], v24, offset:12288 // r=2 i=2 s=0
_ds_load_b64 v[vgprValuC+18:vgprValuC+18+1], v24, offset:13824 // r=3 i=0 s=0
_ds_load_b64 v[vgprValuC+20:vgprValuC+20+1], v24, offset:15360 // r=3 i=1 s=0
_ds_load_b64 v[vgprValuC+22:vgprValuC+22+1], v24, offset:16896 // r=3 i=2 s=0
s_waitcnt lgkmcnt(0)                               // wait for all reads


/* LocalSplitU: reduction */

v_add_f32 v[vgprValuC+0], v[vgprValuC+6], v[vgprValuC+0] // c[0] += c[6]
v_add_f32 v[vgprValuC+1], v[vgprValuC+7], v[vgprValuC+1] // c[1] += c[7]
	;; [unrolled: 1-line block ×18, first 2 shown]


/* LocalSplitU: global write indices */

/* computeStoreVgprs */
s_mov_b32 s58, 0x15555556                          // v25 = v[vgprSerial] / 24
v_mul_hi_u32 v25, v[vgprSerial], s58               // v25 = v[vgprSerial] / 24
v_lshrrev_b32 v25, 0x1, v25                        // v25 = v[vgprSerial] / 24
s_mov_b32 s58, 0x18                                // v24 = v[vgprSerial] % 24
v_mul_lo_u32 v24, v25, s58                         // v24 = v[vgprSerial] % 24
_v_sub_u32 v24, v[vgprSerial], v24                 // v24 = v[vgprSerial] % 24
v_lshlrev_b32 v24, 0x1, v24                        // v24 = v24 * 2
v_mul_lo_u32 v26, v25, s[sgprStrideC1J]            // rowStart vgpr
v_mul_lo_u32 v27, v25, s[sgprStrideD1J]            // rowStart vgpr

s_mul_i32 s58, 0x30, s[sgprWorkGroup0]             // s58 = wg0*MT0
_v_add_co_u32 v24, vcc, s58, v24                   // coord0 = tid0*VW + wg0*MT0
s_mul_i32 s60, 0x18, s[sgprWorkGroup1]             // <- wg1*MT1
_v_add_co_u32 v25, vcc, s60, v25                   // coord1 = tid1*VW + wg1*MT1


/* LocalSplitU: global write */

s_mov_b32 s61, 0x0                                 // STATIC_DIV: divisior=48
s_mul_i32 s60, 0xaaa, s[sgprSizeI]                 // tmp1 = dividend * magic hi
s_lshl_b64 s[60:61], s[60:61], 0x10                // left shift 16 bits
s_mul_i32 s59, s[sgprSizeI], 0xaaab                // tmp0 = dividend * magic lo
s_add_u32 s60, s59, s60                            // add lo
s_addc_u32 s61, s61, 0x0                           // add hi
s_lshr_b64 s[60:61], s[60:61], 0x21                // tmp1 = (dividend * magic) << shift
s_mov_b32 s59, s60                                 // quotient
s_mul_i32 s60, s59, 0x30                           // quotient*divisor
s_sub_u32 s58, s[sgprSizeI], s60                   // rReg = dividend - quotient*divisor
s_add_u32 s59, -0x1, s[sgprNumWorkGroups0]         // 
s_cmp_ge_u32 s[sgprWorkGroup0], s59                // wg0 >= nwg0-1 ?
s_cselect_b32 s58, s58, 0                          // set rMT0
s_cmpk_gt_u32 s58, 0x0                             // rMT0 > 0
s_cbranch_scc1 GW_B0_E1_31                         // jump if edges required
s_mov_b32 s61, 0x0                                 // STATIC_DIV: divisior=24
s_mul_i32 s60, 0x1555, s[sgprSizeJ]                // tmp1 = dividend * magic hi
s_lshl_b64 s[60:61], s[60:61], 0x10                // left shift 16 bits
s_mul_i32 s59, s[sgprSizeJ], 0x5556                // tmp0 = dividend * magic lo
s_add_u32 s60, s59, s60                            // add lo
s_addc_u32 s61, s61, 0x0                           // add hi
s_lshr_b64 s[60:61], s[60:61], 0x21                // tmp1 = (dividend * magic) << shift
s_mov_b32 s59, s60                                 // quotient
s_mul_i32 s60, s59, 0x18                           // quotient*divisor
s_sub_u32 s58, s[sgprSizeJ], s60                   // rReg = dividend - quotient*divisor
s_add_u32 s59, -0x1, s[sgprNumWorkGroups1]         // 
s_cmp_ge_u32 s[sgprWorkGroup1], s59                // wg1 >= nwg1-1
s_cselect_b32 s58, s58, 0                          // set rMT1
s_cmpk_gt_u32 s58, 0x0                             // rMT1 > 0
s_cbranch_scc1 GW_B0_E1_31                         // jump if edges required
GW_B0_E0_28:

/* edge=0, allocate 28 sgpr. perBatchTmpS=4 perBatchMaskS=0 perElementMaskS=4 elementsPerBatch=6 */
/* optSingleColVgpr=0 optSharedColVgpr=0 optSGPRUsage=None optSrdIncForRow=0 */

/******************************************/
/* Global Write Alpha Batch #0 (d1,d0,vc1,vc0) = */
/*    (0,0,0,0:vw2:vaw:1); (1,0,0,0:vw2:vaw:1); (2,0,0,0:vw2:vaw:1) */
/******************************************/

/* calc coords, apply mask, and issue loads (if necessary) */
/* (d1,vc1,d0,vc0)=(0,0,0,0) */
_v_add_lshl_u32 v30, v27, v24, 0x2                 // scaleToBpe: accumulate d0 lower and *= bpe into Cin addr
_buffer_load_b64 v[34:35], v30, s[sgprSrdD:sgprSrdD+3], 0, offen offset:0 // load D (atomic) bpm=8 vaw=1
/* (d1,vc1,d0,vc0)=(1,0,0,0) */

/* Fix for UseInitialStridesCD, emitAddressSetupCode */
s_mul_i32 s58, s[sgprStrideC1J], 8                 // scale stride
_v_add_u32 v26, v26, s58                           // ROWINC- Move cinRowPtr to next row
s_mul_i32 s58, s[sgprStrideD1J], 8                 // scale stride
_v_add_u32 v27, v27, s58                           // Move coutRowPtr to next row
_v_add_lshl_u32 v31, v27, v24, 0x2                 // scaleToBpe: accumulate d0 lower and *= bpe into Cin addr
_buffer_load_b64 v[38:39], v31, s[sgprSrdD:sgprSrdD+3], 0, offen offset:0 // load D (atomic) bpm=8 vaw=1
/* (d1,vc1,d0,vc0)=(2,0,0,0) */

/* Fix for UseInitialStridesCD, emitAddressSetupCode */
s_mul_i32 s58, s[sgprStrideC1J], 8                 // scale stride
_v_add_u32 v26, v26, s58                           // ROWINC- Move cinRowPtr to next row
s_mul_i32 s58, s[sgprStrideD1J], 8                 // scale stride
_v_add_u32 v27, v27, s58                           // Move coutRowPtr to next row
_v_add_lshl_u32 v40, v27, v24, 0x2                 // scaleToBpe: accumulate d0 lower and *= bpe into Cin addr
_buffer_load_b64 v[46:47], v40, s[sgprSrdD:sgprSrdD+3], 0, offen offset:0 // load D (atomic) bpm=8 vaw=1

/* rC *= alpha batchElements=[(0, 0, 0, 0), (1, 0, 0, 0), (2, 0, 0, 0)] */
v_mul_f32 v[vgprValuC+0], s[sgprAlpha], v[vgprValuC+0] // *= alpha
v_mul_f32 v[vgprValuC+1], s[sgprAlpha], v[vgprValuC+1] // *= alpha
	;; [unrolled: 1-line block ×6, first 2 shown]
s_waitcnt vmcnt(0)                                 // wait C (atomic)

/* issue first atomic writes */
v_mov_b32 v33, v34                                 // v_mov for reordering loaded data
v_add_f32 v32, v33, v[vgprValuC+0]                 // desired value
_buffer_atomic_cmpswap_b32 v[32:33], v30, s[sgprSrdD:sgprSrdD+3] 0 offen offset:0 glc   // attempt write
v_add_f32 v34, v35, v[vgprValuC+1]                 // desired value
_buffer_atomic_cmpswap_b32 v[34:35], v30, s[sgprSrdD:sgprSrdD+3] 0 offen offset:4 glc   // attempt write
v_mov_b32 v37, v38                                 // v_mov for reordering loaded data
v_add_f32 v36, v37, v[vgprValuC+2]                 // desired value
_buffer_atomic_cmpswap_b32 v[36:37], v31, s[sgprSrdD:sgprSrdD+3] 0 offen offset:0 glc   // attempt write
v_add_f32 v38, v39, v[vgprValuC+3]                 // desired value
_buffer_atomic_cmpswap_b32 v[38:39], v31, s[sgprSrdD:sgprSrdD+3] 0 offen offset:4 glc   // attempt write
	;; [unrolled: 5-line block ×3, first 2 shown]
s_waitcnt vmcnt(0)                                 // wait for atomic writes

/* check success of writes, update masks */
v_cmp_ne_u32 s[62:63], v32, v33                    // c read during atomic != c read during prior load
v_cmp_ne_u32 s[64:65], v34, v35                    // c read during atomic != c read during prior load
	;; [unrolled: 1-line block ×6, first 2 shown]

/* or masks to check for exit */
s_mov_b64 s[58:59], 0x0                            // empty mask
s_or_b64 s[58:59], s[62:63], s[58:59]              // or to add threads
s_or_b64 s[58:59], s[64:65], s[58:59]              // or to add threads
	;; [unrolled: 1-line block ×6, first 2 shown]
s_or_saveexec_b64 s[60:61], s[58:59]               // apply combined mask
s_cbranch_execz label_0039                         // if exec is zero skip loop

/* atomic CAS loop */
label_0038:

/* apply updated masks and issue writes again */
s_mov_b64 exec, s[62:63]                           // must try again
v_mov_b32 v33, v32                                 // dataV+1 = tmp (new original C)
v_add_f32 v32, v33, v[vgprValuC+0]                 // newC = rC + originalC
_buffer_atomic_cmpswap_b32 v[32:33], v30, s[sgprSrdD:sgprSrdD+3] 0 offen offset:0 glc   // attempt write
s_mov_b64 exec, s[64:65]                           // must try again
v_mov_b32 v35, v34                                 // dataV+1 = tmp (new original C)
v_add_f32 v34, v35, v[vgprValuC+1]                 // newC = rC + originalC
_buffer_atomic_cmpswap_b32 v[34:35], v30, s[sgprSrdD:sgprSrdD+3] 0 offen offset:4 glc   // attempt write
	;; [unrolled: 4-line block ×6, first 2 shown]
s_waitcnt vmcnt(0)                                 // wait for atomic writes

/* apply masks and check for success */
s_mov_b64 exec, s[62:63]                           // must try again
v_cmp_ne_u32 s[58:59], v32, v33                    // c read during atomic != c read during prior load
s_and_b64 s[62:63], s[58:59], s[62:63]             // inBounds & must try again
s_mov_b64 exec, s[64:65]                           // must try again
v_cmp_ne_u32 s[58:59], v34, v35                    // c read during atomic != c read during prior load
s_and_b64 s[64:65], s[58:59], s[64:65]             // inBounds & must try again
	;; [unrolled: 3-line block ×6, first 2 shown]

/* or masks to check for exit */
s_mov_b64 s[58:59], 0x0                            // empty mask
s_or_b64 s[58:59], s[62:63], s[58:59]              // or to add threads
s_or_b64 s[58:59], s[64:65], s[58:59]              // or to add threads
	;; [unrolled: 1-line block ×6, first 2 shown]
s_or_saveexec_b64 s[60:61], s[58:59]               // apply combined mask
s_cbranch_execnz label_0038                        // try again if not complete
label_0039:
s_mov_b64 exec, -1                                 // full mask -> exec
s_branch label_GW_End_33                           // jump to end
GW_B0_E1_31:

/* edge=1, allocate 26 sgpr. perBatchTmpS=4 perBatchMaskS=0 perElementMaskS=2 elementsPerBatch=11 */
/* optSingleColVgpr=0 optSharedColVgpr=0 optSGPRUsage=None optSrdIncForRow=0 */

/******************************************/
/* Global Write Alpha Edge Batch #0 (d1,d0,vc1,vc0) = */
/*    (0,0,0,0:vw1:vaw:1); (0,0,0,1:vw1:vaw:1); (1,0,0,0:vw1:vaw:1); (1,0,0,1:vw1:vaw:1); (2,0,0,0:vw1:vaw:1); (2,0,0,1:vw1:vaw:1) */
/******************************************/

/* calc coords, apply mask, and issue loads (if necessary) */
/* (d1,vc1,d0,vc0)=(0,0,0,0) */
v_cmp_lt_u32 s[58:59], v24, s[sgprSizeI]           // coord0 < size0
v_cmp_lt_u32 s[62:63], v25, s[sgprSizeJ]           // coord1 < size1
s_and_b64 s[62:63], s[58:59], s[62:63]             // in0 && in1
_v_add_lshl_u32 v30, v27, v24, 0x2                 // scaleToBpe: accumulate d0 lower and *= bpe into Cin addr
v_cndmask_b32 v30, -1, v30, s[62:63]               // LDD clip if OOB. offset
_buffer_load_b32 v33, v30, s[sgprSrdD:sgprSrdD+3], 0, offen offset:0 // load D (atomic) bpm=4 vaw=1
/* (d1,vc1,d0,vc0)=(0,0,0,1) */
_v_add_co_u32 v28, vcc, v24, 1                     // coord0.1: coord0 += d0*sg0*VW + vc0
v_cmp_lt_u32 s[58:59], v28, s[sgprSizeI]           // coord0 < size0
v_cmp_lt_u32 s[64:65], v25, s[sgprSizeJ]           // coord1 < size1
s_and_b64 s[64:65], s[58:59], s[64:65]             // in0 && in1
_v_add_lshl_u32 v31, v27, v28, 0x2                 // scaleToBpe: accumulate d0 lower and *= bpe into Cin addr
v_cndmask_b32 v31, -1, v31, s[64:65]               // LDD clip if OOB. offset
_buffer_load_b32 v35, v31, s[sgprSrdD:sgprSrdD+3], 0, offen offset:0 // load D (atomic) bpm=4 vaw=1
/* (d1,vc1,d0,vc0)=(1,0,0,0) */
_v_add_co_u32 v25, vcc, v25, 8                     // coord1.1: coord1Vgpr += d1*sg1*VW + vc1

/* Fix for UseInitialStridesCD, emitAddressSetupCode */
s_mul_i32 s58, s[sgprStrideC1J], 8                 // scale stride
_v_add_u32 v26, v26, s58                           // ROWINC- Move cinRowPtr to next row
s_mul_i32 s58, s[sgprStrideD1J], 8                 // scale stride
_v_add_u32 v27, v27, s58                           // Move coutRowPtr to next row
v_cmp_lt_u32 s[58:59], v24, s[sgprSizeI]           // coord0 < size0
v_cmp_lt_u32 s[66:67], v25, s[sgprSizeJ]           // coord1 < size1
s_and_b64 s[66:67], s[58:59], s[66:67]             // in0 && in1
_v_add_lshl_u32 v36, v27, v24, 0x2                 // scaleToBpe: accumulate d0 lower and *= bpe into Cin addr
v_cndmask_b32 v36, -1, v36, s[66:67]               // LDD clip if OOB. offset
_buffer_load_b32 v39, v36, s[sgprSrdD:sgprSrdD+3], 0, offen offset:0 // load D (atomic) bpm=4 vaw=1
/* (d1,vc1,d0,vc0)=(1,0,0,1) */
_v_add_co_u32 v28, vcc, v24, 1                     // coord0.1: coord0 += d0*sg0*VW + vc0
v_cmp_lt_u32 s[58:59], v28, s[sgprSizeI]           // coord0 < size0
v_cmp_lt_u32 s[68:69], v25, s[sgprSizeJ]           // coord1 < size1
s_and_b64 s[68:69], s[58:59], s[68:69]             // in0 && in1
_v_add_lshl_u32 v37, v27, v28, 0x2                 // scaleToBpe: accumulate d0 lower and *= bpe into Cin addr
v_cndmask_b32 v37, -1, v37, s[68:69]               // LDD clip if OOB. offset
_buffer_load_b32 v41, v37, s[sgprSrdD:sgprSrdD+3], 0, offen offset:0 // load D (atomic) bpm=4 vaw=1
/* (d1,vc1,d0,vc0)=(2,0,0,0) */
_v_add_co_u32 v25, vcc, v25, 8                     // coord1.1: coord1Vgpr += d1*sg1*VW + vc1

/* Fix for UseInitialStridesCD, emitAddressSetupCode */
s_mul_i32 s58, s[sgprStrideC1J], 8                 // scale stride
_v_add_u32 v26, v26, s58                           // ROWINC- Move cinRowPtr to next row
s_mul_i32 s58, s[sgprStrideD1J], 8                 // scale stride
_v_add_u32 v27, v27, s58                           // Move coutRowPtr to next row
v_cmp_lt_u32 s[58:59], v24, s[sgprSizeI]           // coord0 < size0
v_cmp_lt_u32 s[70:71], v25, s[sgprSizeJ]           // coord1 < size1
s_and_b64 s[70:71], s[58:59], s[70:71]             // in0 && in1
_v_add_lshl_u32 v42, v27, v24, 0x2                 // scaleToBpe: accumulate d0 lower and *= bpe into Cin addr
v_cndmask_b32 v42, -1, v42, s[70:71]               // LDD clip if OOB. offset
_buffer_load_b32 v45, v42, s[sgprSrdD:sgprSrdD+3], 0, offen offset:0 // load D (atomic) bpm=4 vaw=1
/* (d1,vc1,d0,vc0)=(2,0,0,1) */
_v_add_co_u32 v28, vcc, v24, 1                     // coord0.1: coord0 += d0*sg0*VW + vc0
v_cmp_lt_u32 s[58:59], v28, s[sgprSizeI]           // coord0 < size0
v_cmp_lt_u32 s[72:73], v25, s[sgprSizeJ]           // coord1 < size1
s_and_b64 s[72:73], s[58:59], s[72:73]             // in0 && in1
_v_add_lshl_u32 v43, v27, v28, 0x2                 // scaleToBpe: accumulate d0 lower and *= bpe into Cin addr
v_cndmask_b32 v43, -1, v43, s[72:73]               // LDD clip if OOB. offset
_buffer_load_b32 v47, v43, s[sgprSrdD:sgprSrdD+3], 0, offen offset:0 // load D (atomic) bpm=4 vaw=1

/* rC *= alpha batchElements=[(0, 0, 0, 0), (0, 0, 0, 1), (1, 0, 0, 0), (1, 0, 0, 1), (2, 0, 0, 0), (2, 0, 0, 1)] */
v_mul_f32 v[vgprValuC+0], s[sgprAlpha], v[vgprValuC+0] // *= alpha
v_mul_f32 v[vgprValuC+1], s[sgprAlpha], v[vgprValuC+1] // *= alpha
v_mul_f32 v[vgprValuC+2], s[sgprAlpha], v[vgprValuC+2] // *= alpha
v_mul_f32 v[vgprValuC+3], s[sgprAlpha], v[vgprValuC+3] // *= alpha
v_mul_f32 v[vgprValuC+4], s[sgprAlpha], v[vgprValuC+4] // *= alpha
v_mul_f32 v[vgprValuC+5], s[sgprAlpha], v[vgprValuC+5] // *= alpha
s_waitcnt vmcnt(0)                                 // wait C (atomic)

/* issue first atomic writes */
s_mov_b64 exec, s[62:63]                           // sgprs -> exec (before atomic)
v_add_f32 v32, v33, v[vgprValuC+0]                 // desired value
_buffer_atomic_cmpswap_b32 v[32:33], v30, s[sgprSrdD:sgprSrdD+3] 0 offen offset:0 glc   // attempt write
s_mov_b64 exec, s[64:65]                           // sgprs -> exec (before atomic)
v_add_f32 v34, v35, v[vgprValuC+1]                 // desired value
_buffer_atomic_cmpswap_b32 v[34:35], v31, s[sgprSrdD:sgprSrdD+3] 0 offen offset:0 glc   // attempt write
	;; [unrolled: 3-line block ×6, first 2 shown]
s_waitcnt vmcnt(0)                                 // wait for atomic writes

/* check success of writes, update masks */
s_mov_b64 exec, s[62:63]                           // sgprs -> exec
v_cmp_ne_u32 s[58:59], v32, v33                    // c read during atomic != c read during prior load
s_and_b64 s[62:63], s[58:59], s[62:63]             // inBounds & must try again
s_mov_b64 exec, s[64:65]                           // sgprs -> exec
v_cmp_ne_u32 s[58:59], v34, v35                    // c read during atomic != c read during prior load
s_and_b64 s[64:65], s[58:59], s[64:65]             // inBounds & must try again
	;; [unrolled: 3-line block ×6, first 2 shown]

/* or masks to check for exit */
s_mov_b64 s[58:59], 0x0                            // empty mask
s_or_b64 s[58:59], s[62:63], s[58:59]              // or to add threads
s_or_b64 s[58:59], s[64:65], s[58:59]              // or to add threads
	;; [unrolled: 1-line block ×6, first 2 shown]
s_or_saveexec_b64 s[60:61], s[58:59]               // apply combined mask
s_cbranch_execz label_0041                         // if exec is zero skip loop

/* atomic CAS loop */
label_0040:

/* apply updated masks and issue writes again */
s_mov_b64 exec, s[62:63]                           // must try again
v_mov_b32 v33, v32                                 // dataV+1 = tmp (new original C)
v_add_f32 v32, v33, v[vgprValuC+0]                 // newC = rC + originalC
_buffer_atomic_cmpswap_b32 v[32:33], v30, s[sgprSrdD:sgprSrdD+3] 0 offen offset:0 glc   // attempt write
s_mov_b64 exec, s[64:65]                           // must try again
v_mov_b32 v35, v34                                 // dataV+1 = tmp (new original C)
v_add_f32 v34, v35, v[vgprValuC+1]                 // newC = rC + originalC
_buffer_atomic_cmpswap_b32 v[34:35], v31, s[sgprSrdD:sgprSrdD+3] 0 offen offset:0 glc   // attempt write
	;; [unrolled: 4-line block ×6, first 2 shown]
s_waitcnt vmcnt(0)                                 // wait for atomic writes

/* apply masks and check for success */
s_mov_b64 exec, s[62:63]                           // must try again
v_cmp_ne_u32 s[58:59], v32, v33                    // c read during atomic != c read during prior load
s_and_b64 s[62:63], s[58:59], s[62:63]             // inBounds & must try again
s_mov_b64 exec, s[64:65]                           // must try again
v_cmp_ne_u32 s[58:59], v34, v35                    // c read during atomic != c read during prior load
s_and_b64 s[64:65], s[58:59], s[64:65]             // inBounds & must try again
	;; [unrolled: 3-line block ×6, first 2 shown]

/* or masks to check for exit */
s_mov_b64 s[58:59], 0x0                            // empty mask
s_or_b64 s[58:59], s[62:63], s[58:59]              // or to add threads
s_or_b64 s[58:59], s[64:65], s[58:59]              // or to add threads
	;; [unrolled: 1-line block ×6, first 2 shown]
s_or_saveexec_b64 s[60:61], s[58:59]               // apply combined mask
s_cbranch_execnz label_0040                        // try again if not complete
label_0041:
s_mov_b64 exec, -1                                 // full mask -> exec
s_branch label_GW_End_33                           // jump to end
label_GW_End_33:

label_0042:  /// KernelEnd
s_endpgm                                           // Kernel End

